;; amdgpu-corpus repo=ROCm/rocFFT kind=compiled arch=gfx950 opt=O3
	.text
	.amdgcn_target "amdgcn-amd-amdhsa--gfx950"
	.amdhsa_code_object_version 6
	.protected	fft_rtc_fwd_len546_factors_13_3_7_2_wgs_117_tpt_39_halfLds_sp_op_CI_CI_unitstride_sbrr_dirReg ; -- Begin function fft_rtc_fwd_len546_factors_13_3_7_2_wgs_117_tpt_39_halfLds_sp_op_CI_CI_unitstride_sbrr_dirReg
	.globl	fft_rtc_fwd_len546_factors_13_3_7_2_wgs_117_tpt_39_halfLds_sp_op_CI_CI_unitstride_sbrr_dirReg
	.p2align	8
	.type	fft_rtc_fwd_len546_factors_13_3_7_2_wgs_117_tpt_39_halfLds_sp_op_CI_CI_unitstride_sbrr_dirReg,@function
fft_rtc_fwd_len546_factors_13_3_7_2_wgs_117_tpt_39_halfLds_sp_op_CI_CI_unitstride_sbrr_dirReg: ; @fft_rtc_fwd_len546_factors_13_3_7_2_wgs_117_tpt_39_halfLds_sp_op_CI_CI_unitstride_sbrr_dirReg
; %bb.0:
	s_load_dwordx4 s[4:7], s[0:1], 0x58
	s_load_dwordx4 s[8:11], s[0:1], 0x0
	;; [unrolled: 1-line block ×3, first 2 shown]
	v_mul_u32_u24_e32 v1, 0x691, v0
	v_lshrrev_b32_e32 v2, 16, v1
	v_mad_u64_u32 v[46:47], s[2:3], s2, 3, v[2:3]
	v_mov_b32_e32 v4, 0
	v_mov_b32_e32 v47, v4
	s_waitcnt lgkmcnt(0)
	v_cmp_lt_u64_e64 s[2:3], s[10:11], 2
	v_mov_b64_e32 v[56:57], 0
	s_and_b64 vcc, exec, s[2:3]
	v_mov_b64_e32 v[2:3], v[56:57]
	v_mov_b64_e32 v[6:7], v[46:47]
	s_cbranch_vccnz .LBB0_8
; %bb.1:
	s_load_dwordx2 s[2:3], s[0:1], 0x10
	s_add_u32 s16, s14, 8
	s_addc_u32 s17, s15, 0
	s_add_u32 s18, s12, 8
	s_addc_u32 s19, s13, 0
	s_waitcnt lgkmcnt(0)
	s_add_u32 s20, s2, 8
	v_mov_b64_e32 v[56:57], 0
	s_addc_u32 s21, s3, 0
	s_mov_b64 s[22:23], 1
	v_mov_b64_e32 v[2:3], v[56:57]
	v_mov_b64_e32 v[8:9], v[46:47]
.LBB0_2:                                ; =>This Inner Loop Header: Depth=1
	s_load_dwordx2 s[24:25], s[20:21], 0x0
                                        ; implicit-def: $vgpr6_vgpr7
	s_waitcnt lgkmcnt(0)
	v_or_b32_e32 v5, s25, v9
	v_cmp_ne_u64_e32 vcc, 0, v[4:5]
	s_and_saveexec_b64 s[2:3], vcc
	s_xor_b64 s[26:27], exec, s[2:3]
	s_cbranch_execz .LBB0_4
; %bb.3:                                ;   in Loop: Header=BB0_2 Depth=1
	v_cvt_f32_u32_e32 v1, s24
	v_cvt_f32_u32_e32 v5, s25
	s_sub_u32 s2, 0, s24
	s_subb_u32 s3, 0, s25
	v_fmac_f32_e32 v1, 0x4f800000, v5
	v_rcp_f32_e32 v1, v1
	s_nop 0
	v_mul_f32_e32 v1, 0x5f7ffffc, v1
	v_mul_f32_e32 v5, 0x2f800000, v1
	v_trunc_f32_e32 v5, v5
	v_fmac_f32_e32 v1, 0xcf800000, v5
	v_cvt_u32_f32_e32 v5, v5
	v_cvt_u32_f32_e32 v1, v1
	v_mul_lo_u32 v6, s2, v5
	v_mul_hi_u32 v10, s2, v1
	v_mul_lo_u32 v7, s3, v1
	v_add_u32_e32 v10, v10, v6
	v_mul_lo_u32 v12, s2, v1
	v_add_u32_e32 v13, v10, v7
	v_mul_hi_u32 v6, v1, v12
	v_mul_hi_u32 v11, v1, v13
	v_mul_lo_u32 v10, v1, v13
	v_mov_b32_e32 v7, v4
	v_lshl_add_u64 v[6:7], v[6:7], 0, v[10:11]
	v_mul_hi_u32 v11, v5, v12
	v_mul_lo_u32 v12, v5, v12
	v_add_co_u32_e32 v6, vcc, v6, v12
	v_mul_hi_u32 v10, v5, v13
	s_nop 0
	v_addc_co_u32_e32 v6, vcc, v7, v11, vcc
	v_mov_b32_e32 v7, v4
	s_nop 0
	v_addc_co_u32_e32 v11, vcc, 0, v10, vcc
	v_mul_lo_u32 v10, v5, v13
	v_lshl_add_u64 v[6:7], v[6:7], 0, v[10:11]
	v_add_co_u32_e32 v1, vcc, v1, v6
	v_mul_lo_u32 v10, s2, v1
	s_nop 0
	v_addc_co_u32_e32 v5, vcc, v5, v7, vcc
	v_mul_lo_u32 v6, s2, v5
	v_mul_hi_u32 v7, s2, v1
	v_add_u32_e32 v6, v7, v6
	v_mul_lo_u32 v7, s3, v1
	v_add_u32_e32 v12, v6, v7
	v_mul_hi_u32 v14, v5, v10
	v_mul_lo_u32 v15, v5, v10
	v_mul_hi_u32 v7, v1, v12
	v_mul_lo_u32 v6, v1, v12
	v_mul_hi_u32 v10, v1, v10
	v_mov_b32_e32 v11, v4
	v_lshl_add_u64 v[6:7], v[10:11], 0, v[6:7]
	v_add_co_u32_e32 v6, vcc, v6, v15
	v_mul_hi_u32 v13, v5, v12
	s_nop 0
	v_addc_co_u32_e32 v6, vcc, v7, v14, vcc
	v_mul_lo_u32 v10, v5, v12
	s_nop 0
	v_addc_co_u32_e32 v11, vcc, 0, v13, vcc
	v_mov_b32_e32 v7, v4
	v_lshl_add_u64 v[6:7], v[6:7], 0, v[10:11]
	v_add_co_u32_e32 v1, vcc, v1, v6
	v_mul_hi_u32 v10, v8, v1
	s_nop 0
	v_addc_co_u32_e32 v5, vcc, v5, v7, vcc
	v_mad_u64_u32 v[6:7], s[2:3], v8, v5, 0
	v_mov_b32_e32 v11, v4
	v_lshl_add_u64 v[6:7], v[10:11], 0, v[6:7]
	v_mad_u64_u32 v[12:13], s[2:3], v9, v1, 0
	v_add_co_u32_e32 v1, vcc, v6, v12
	v_mad_u64_u32 v[10:11], s[2:3], v9, v5, 0
	s_nop 0
	v_addc_co_u32_e32 v6, vcc, v7, v13, vcc
	v_mov_b32_e32 v7, v4
	s_nop 0
	v_addc_co_u32_e32 v11, vcc, 0, v11, vcc
	v_lshl_add_u64 v[6:7], v[6:7], 0, v[10:11]
	v_mul_lo_u32 v1, s25, v6
	v_mul_lo_u32 v5, s24, v7
	v_mad_u64_u32 v[10:11], s[2:3], s24, v6, 0
	v_add3_u32 v1, v11, v5, v1
	v_sub_u32_e32 v5, v9, v1
	v_mov_b32_e32 v11, s25
	v_sub_co_u32_e32 v14, vcc, v8, v10
	v_lshl_add_u64 v[12:13], v[6:7], 0, 1
	s_nop 0
	v_subb_co_u32_e64 v5, s[2:3], v5, v11, vcc
	v_subrev_co_u32_e64 v10, s[2:3], s24, v14
	v_subb_co_u32_e32 v1, vcc, v9, v1, vcc
	s_nop 0
	v_subbrev_co_u32_e64 v5, s[2:3], 0, v5, s[2:3]
	v_cmp_le_u32_e64 s[2:3], s25, v5
	v_cmp_le_u32_e32 vcc, s25, v1
	s_nop 0
	v_cndmask_b32_e64 v11, 0, -1, s[2:3]
	v_cmp_le_u32_e64 s[2:3], s24, v10
	s_nop 1
	v_cndmask_b32_e64 v10, 0, -1, s[2:3]
	v_cmp_eq_u32_e64 s[2:3], s25, v5
	s_nop 1
	v_cndmask_b32_e64 v5, v11, v10, s[2:3]
	v_lshl_add_u64 v[10:11], v[6:7], 0, 2
	v_cmp_ne_u32_e64 s[2:3], 0, v5
	s_nop 1
	v_cndmask_b32_e64 v5, v13, v11, s[2:3]
	v_cndmask_b32_e64 v11, 0, -1, vcc
	v_cmp_le_u32_e32 vcc, s24, v14
	s_nop 1
	v_cndmask_b32_e64 v13, 0, -1, vcc
	v_cmp_eq_u32_e32 vcc, s25, v1
	s_nop 1
	v_cndmask_b32_e32 v1, v11, v13, vcc
	v_cmp_ne_u32_e32 vcc, 0, v1
	v_cndmask_b32_e64 v1, v12, v10, s[2:3]
	s_nop 0
	v_cndmask_b32_e32 v7, v7, v5, vcc
	v_cndmask_b32_e32 v6, v6, v1, vcc
.LBB0_4:                                ;   in Loop: Header=BB0_2 Depth=1
	s_andn2_saveexec_b64 s[2:3], s[26:27]
	s_cbranch_execz .LBB0_6
; %bb.5:                                ;   in Loop: Header=BB0_2 Depth=1
	v_cvt_f32_u32_e32 v1, s24
	s_sub_i32 s26, 0, s24
	v_rcp_iflag_f32_e32 v1, v1
	s_nop 0
	v_mul_f32_e32 v1, 0x4f7ffffe, v1
	v_cvt_u32_f32_e32 v1, v1
	v_mul_lo_u32 v5, s26, v1
	v_mul_hi_u32 v5, v1, v5
	v_add_u32_e32 v1, v1, v5
	v_mul_hi_u32 v1, v8, v1
	v_mul_lo_u32 v5, v1, s24
	v_sub_u32_e32 v5, v8, v5
	v_add_u32_e32 v6, 1, v1
	v_subrev_u32_e32 v7, s24, v5
	v_cmp_le_u32_e32 vcc, s24, v5
	s_nop 1
	v_cndmask_b32_e32 v5, v5, v7, vcc
	v_cndmask_b32_e32 v1, v1, v6, vcc
	v_add_u32_e32 v6, 1, v1
	v_cmp_le_u32_e32 vcc, s24, v5
	v_mov_b32_e32 v7, v4
	s_nop 0
	v_cndmask_b32_e32 v6, v1, v6, vcc
.LBB0_6:                                ;   in Loop: Header=BB0_2 Depth=1
	s_or_b64 exec, exec, s[2:3]
	v_mad_u64_u32 v[10:11], s[2:3], v6, s24, 0
	s_load_dwordx2 s[2:3], s[18:19], 0x0
	v_mul_lo_u32 v1, v7, s24
	v_mul_lo_u32 v5, v6, s25
	s_load_dwordx2 s[24:25], s[16:17], 0x0
	s_add_u32 s22, s22, 1
	v_add3_u32 v1, v11, v5, v1
	v_sub_co_u32_e32 v5, vcc, v8, v10
	s_addc_u32 s23, s23, 0
	s_nop 0
	v_subb_co_u32_e32 v1, vcc, v9, v1, vcc
	s_add_u32 s16, s16, 8
	s_waitcnt lgkmcnt(0)
	v_mul_lo_u32 v8, s2, v1
	v_mul_lo_u32 v9, s3, v5
	v_mad_u64_u32 v[56:57], s[2:3], s2, v5, v[56:57]
	s_addc_u32 s17, s17, 0
	v_add3_u32 v57, v9, v57, v8
	v_mul_lo_u32 v1, s24, v1
	v_mul_lo_u32 v8, s25, v5
	v_mad_u64_u32 v[2:3], s[2:3], s24, v5, v[2:3]
	s_add_u32 s18, s18, 8
	v_add3_u32 v3, v8, v3, v1
	s_addc_u32 s19, s19, 0
	v_mov_b64_e32 v[8:9], s[10:11]
	s_add_u32 s20, s20, 8
	v_cmp_ge_u64_e32 vcc, s[22:23], v[8:9]
	s_addc_u32 s21, s21, 0
	s_cbranch_vccnz .LBB0_8
; %bb.7:                                ;   in Loop: Header=BB0_2 Depth=1
	v_mov_b64_e32 v[8:9], v[6:7]
	s_branch .LBB0_2
.LBB0_8:
	s_load_dwordx2 s[2:3], s[0:1], 0x28
	s_lshl_b64 s[16:17], s[10:11], 3
	s_add_u32 s10, s14, s16
	s_addc_u32 s11, s15, s17
                                        ; implicit-def: $sgpr14
                                        ; implicit-def: $vgpr4
	s_waitcnt lgkmcnt(0)
	v_cmp_gt_u64_e64 s[0:1], s[2:3], v[6:7]
	v_cmp_le_u64_e32 vcc, s[2:3], v[6:7]
	s_and_saveexec_b64 s[2:3], vcc
	s_xor_b64 s[2:3], exec, s[2:3]
; %bb.9:
	s_mov_b32 s14, 0x6906907
	v_mul_hi_u32 v1, v0, s14
	v_mul_u32_u24_e32 v1, 39, v1
	v_sub_u32_e32 v4, v0, v1
	s_mov_b32 s14, 0
                                        ; implicit-def: $vgpr0
                                        ; implicit-def: $vgpr56_vgpr57
; %bb.10:
	s_or_saveexec_b64 s[2:3], s[2:3]
	s_load_dwordx2 s[10:11], s[10:11], 0x0
	v_mov_b32_e32 v8, s14
	v_mov_b32_e32 v9, s14
                                        ; implicit-def: $vgpr54
                                        ; implicit-def: $vgpr24
                                        ; implicit-def: $vgpr26
                                        ; implicit-def: $vgpr48
                                        ; implicit-def: $vgpr74
                                        ; implicit-def: $vgpr72
                                        ; implicit-def: $vgpr70
                                        ; implicit-def: $vgpr44
                                        ; implicit-def: $vgpr42
                                        ; implicit-def: $vgpr22
                                        ; implicit-def: $vgpr10
                                        ; implicit-def: $vgpr12
                                        ; implicit-def: $vgpr14
                                        ; implicit-def: $vgpr16
                                        ; implicit-def: $vgpr20
                                        ; implicit-def: $vgpr18
                                        ; implicit-def: $vgpr52
                                        ; implicit-def: $vgpr50
                                        ; implicit-def: $vgpr38
                                        ; implicit-def: $vgpr36
                                        ; implicit-def: $vgpr34
                                        ; implicit-def: $vgpr32
                                        ; implicit-def: $vgpr30
                                        ; implicit-def: $vgpr28
                                        ; implicit-def: $vgpr40
                                        ; implicit-def: $vgpr47
	s_xor_b64 exec, exec, s[2:3]
	s_cbranch_execz .LBB0_14
; %bb.11:
	s_add_u32 s12, s12, s16
	s_addc_u32 s13, s13, s17
	s_load_dwordx2 s[12:13], s[12:13], 0x0
	s_mov_b32 s14, 0x6906907
                                        ; implicit-def: $vgpr19
                                        ; implicit-def: $vgpr21
                                        ; implicit-def: $vgpr17
                                        ; implicit-def: $vgpr15
                                        ; implicit-def: $vgpr13
                                        ; implicit-def: $vgpr11
                                        ; implicit-def: $vgpr23
                                        ; implicit-def: $vgpr43
                                        ; implicit-def: $vgpr45
                                        ; implicit-def: $vgpr71
                                        ; implicit-def: $vgpr73
                                        ; implicit-def: $vgpr75
	s_waitcnt lgkmcnt(0)
	v_mul_lo_u32 v1, s13, v6
	v_mul_lo_u32 v4, s12, v7
	v_mad_u64_u32 v[8:9], s[12:13], s12, v6, 0
	v_add3_u32 v9, v9, v4, v1
	v_mul_hi_u32 v1, v0, s14
	v_mul_u32_u24_e32 v1, 39, v1
	v_sub_u32_e32 v4, v0, v1
	v_lshl_add_u64 v[0:1], v[8:9], 3, s[4:5]
	v_lshl_add_u64 v[0:1], v[56:57], 3, v[0:1]
	v_lshlrev_b32_e32 v8, 3, v4
	v_mov_b32_e32 v9, 0
	v_lshl_add_u64 v[24:25], v[0:1], 0, v[8:9]
	global_load_dwordx2 v[0:1], v[24:25], off
	global_load_dwordx2 v[56:57], v[24:25], off offset:336
	global_load_dwordx2 v[52:53], v[24:25], off offset:672
	global_load_dwordx2 v[50:51], v[24:25], off offset:1008
	global_load_dwordx2 v[26:27], v[24:25], off offset:1344
	global_load_dwordx2 v[38:39], v[24:25], off offset:1680
	global_load_dwordx2 v[36:37], v[24:25], off offset:2016
	global_load_dwordx2 v[48:49], v[24:25], off offset:2352
	global_load_dwordx2 v[34:35], v[24:25], off offset:2688
	global_load_dwordx2 v[32:33], v[24:25], off offset:3024
	global_load_dwordx2 v[30:31], v[24:25], off offset:3360
	global_load_dwordx2 v[28:29], v[24:25], off offset:3696
	global_load_dwordx2 v[40:41], v[24:25], off offset:4032
	v_cmp_gt_u32_e32 vcc, 3, v4
	v_mov_b32_e32 v8, v9
	s_and_saveexec_b64 s[4:5], vcc
	s_cbranch_execz .LBB0_13
; %bb.12:
	global_load_dwordx2 v[8:9], v[24:25], off offset:312
	global_load_dwordx2 v[74:75], v[24:25], off offset:648
	;; [unrolled: 1-line block ×12, first 2 shown]
	v_add_co_u32_e32 v10, vcc, 0x1000, v24
	s_nop 1
	v_addc_co_u32_e32 v11, vcc, 0, v25, vcc
	global_load_dwordx2 v[10:11], v[10:11], off offset:248
.LBB0_13:
	s_or_b64 exec, exec, s[4:5]
	s_waitcnt vmcnt(8)
	v_mov_b32_e32 v54, v27
	v_mov_b32_e32 v55, v56
	s_waitcnt vmcnt(5)
	v_mov_b32_e32 v24, v49
	v_mov_b32_e32 v25, v1
	;; [unrolled: 1-line block ×4, first 2 shown]
	s_waitcnt vmcnt(0)
	v_mov_b32_e32 v47, v41
.LBB0_14:
	s_or_b64 exec, exec, s[2:3]
	s_mov_b32 s2, 0xaaaaaaab
	v_mul_hi_u32 v0, v46, s2
	v_lshrrev_b32_e32 v0, 1, v0
	v_lshl_add_u32 v0, v0, 1, v0
	v_pk_add_f32 v[58:59], v[52:53], v[28:29]
	v_pk_add_f32 v[60:61], v[52:53], v[28:29] neg_lo:[0,1] neg_hi:[0,1]
	v_sub_u32_e32 v111, v46, v0
	v_pk_add_f32 v[0:1], v[48:49], v[54:55]
	v_mov_b32_e32 v56, v58
	v_mov_b32_e32 v57, v61
	s_mov_b32 s3, 0xbf52af12
	s_mov_b32 s2, 0x3f116cb1
	v_mov_b32_e32 v0, v1
	v_pk_mul_f32 v[62:63], v[56:57], s[2:3]
	v_pk_add_f32 v[0:1], v[0:1], v[52:53]
	v_mov_b32_e32 v5, v62
	v_mov_b32_e32 v46, v63
	v_pk_add_f32 v[62:63], v[38:39], v[34:35]
	v_pk_add_f32 v[66:67], v[38:39], v[34:35] neg_lo:[0,1] neg_hi:[0,1]
	v_pk_add_f32 v[84:85], v[0:1], v[50:51]
	s_mov_b32 s18, 0xbf3f9e67
	s_mov_b32 s19, 0xbf29c268
	v_mov_b32_e32 v0, v62
	v_mov_b32_e32 v1, v67
	v_pk_fma_f32 v[78:79], v[56:57], s[2:3], v[4:5] neg_lo:[1,0,0] neg_hi:[1,0,0]
	v_pk_fma_f32 v[76:77], v[56:57], s[2:3], v[46:47]
	v_pk_mul_f32 v[56:57], v[0:1], s[18:19]
	s_mov_b32 s15, 0xbe750f2a
	v_mov_b32_e32 v5, v56
	v_mov_b32_e32 v46, v57
	v_pk_fma_f32 v[88:89], v[0:1], s[18:19], v[4:5] neg_lo:[1,0,0] neg_hi:[1,0,0]
	v_pk_fma_f32 v[86:87], v[0:1], s[18:19], v[46:47]
	v_mov_b32_e32 v0, v48
	v_mov_b32_e32 v1, v24
	v_pk_add_f32 v[64:65], v[36:37], v[0:1]
	v_pk_add_f32 v[68:69], v[36:37], v[0:1] neg_lo:[0,1] neg_hi:[0,1]
	v_mov_b32_e32 v0, v64
	v_mov_b32_e32 v1, v69
	s_mov_b32 s14, 0xbf788fa5
	v_pk_mul_f32 v[56:57], v[0:1], s[14:15]
	v_mov_b32_e32 v41, v44
	v_mov_b32_e32 v5, v56
	;; [unrolled: 1-line block ×3, first 2 shown]
	v_pk_fma_f32 v[96:97], v[0:1], s[14:15], v[4:5] neg_lo:[1,0,0] neg_hi:[1,0,0]
	v_pk_fma_f32 v[90:91], v[0:1], s[14:15], v[46:47]
	v_pk_add_f32 v[0:1], v[8:9], v[74:75]
	s_mov_b32 s12, 0xbeb58ec6
	v_pk_add_f32 v[0:1], v[0:1], v[72:73]
	s_mov_b32 s4, 0x3df6dbef
	v_pk_add_f32 v[80:81], v[0:1], v[70:71]
	v_mov_b32_e32 v0, v55
	v_mov_b32_e32 v1, v80
	v_pk_add_f32 v[82:83], v[0:1], v[40:41]
	v_pk_add_f32 v[0:1], v[42:43], v[20:21] neg_lo:[0,1] neg_hi:[0,1]
	s_mov_b32 s13, 0xbf6f5d39
	v_pk_add_f32 v[56:57], v[42:43], v[20:21]
	v_mul_f32_e32 v110, 0xbf29c268, v1
	v_mov_b32_e32 v46, v84
	s_mov_b32 s30, s12
	s_mov_b32 s31, s18
	;; [unrolled: 1-line block ×9, first 2 shown]
	v_fma_f32 v144, v56, s18, -v110
	s_mov_b32 s18, s13
	v_pk_add_f32 v[98:99], v[26:27], v[46:47] neg_lo:[0,1] neg_hi:[0,1]
	v_pk_mul_f32 v[100:101], v[82:83], s[30:31] op_sel_hi:[0,1]
	s_mov_b32 s17, 0x3eedf032
	s_mov_b32 s24, s16
	;; [unrolled: 1-line block ×3, first 2 shown]
	v_mov_b32_e32 v80, v49
	v_pk_fma_f32 v[92:93], v[98:99], s[18:19], v[100:101] op_sel:[1,0,0]
	v_pk_mul_f32 v[102:103], v[58:59], s[28:29] op_sel_hi:[0,1]
	v_pk_add_f32 v[92:93], v[92:93], v[80:81] op_sel_hi:[1,0]
	v_pk_fma_f32 v[94:95], v[60:61], s[24:25], v[102:103] op_sel:[1,0,0]
	s_mov_b32 s23, 0x3f62ad3f
	v_pk_add_f32 v[94:95], v[94:95], v[92:93]
	s_mov_b32 s30, s23
	s_mov_b32 s31, s2
	v_pk_add_f32 v[92:93], v[50:51], v[30:31]
	s_mov_b32 s28, s17
	s_mov_b32 s29, s3
	v_pk_add_f32 v[106:107], v[50:51], v[30:31] neg_lo:[0,1] neg_hi:[0,1]
	v_pk_mul_f32 v[104:105], v[92:93], s[30:31] op_sel_hi:[0,1]
	v_pk_fma_f32 v[108:109], v[106:107], s[28:29], v[104:105] op_sel:[1,0,0]
	s_mov_b32 s34, s4
	v_pk_add_f32 v[112:113], v[108:109], v[94:95]
	v_mov_b32_e32 v108, v26
	v_mov_b32_e32 v109, v54
	v_pk_add_f32 v[94:95], v[108:109], v[32:33]
	s_mov_b32 s35, s14
	v_pk_add_f32 v[108:109], v[108:109], v[32:33] neg_lo:[0,1] neg_hi:[0,1]
	s_mov_b32 s31, 0x3e750f2a
	s_mov_b32 s30, s5
	v_pk_mul_f32 v[114:115], v[94:95], s[34:35] op_sel_hi:[0,1]
	v_pk_fma_f32 v[116:117], v[108:109], s[30:31], v[114:115] op_sel:[1,0,0]
	s_mov_b32 s41, s15
	s_mov_b32 s38, s15
	;; [unrolled: 1-line block ×3, first 2 shown]
	v_pk_add_f32 v[112:113], v[116:117], v[112:113]
	s_mov_b32 s34, s31
	s_mov_b32 s35, s17
	v_pk_mul_f32 v[116:117], v[62:63], s[14:15] op_sel_hi:[0,1]
	v_pk_fma_f32 v[118:119], v[66:67], s[34:35], v[116:117] op_sel:[1,0,0]
	s_mov_b32 s21, s3
	s_mov_b32 s42, s3
	;; [unrolled: 1-line block ×3, first 2 shown]
	v_pk_add_f32 v[112:113], v[118:119], v[112:113]
	s_mov_b32 s36, 0x3f52af12
	s_mov_b32 s37, s13
	v_pk_mul_f32 v[118:119], v[64:65], s[2:3] op_sel_hi:[0,1]
	v_pk_fma_f32 v[120:121], v[68:69], s[36:37], v[118:119] op_sel:[1,0,0]
	v_mul_u32_u24_e32 v111, 0x222, v111
	v_mad_u32_u24 v5, v4, 52, 0
	v_pk_add_f32 v[112:113], v[120:121], v[112:113]
	v_lshl_add_u32 v46, v111, 2, v5
	s_mov_b32 s46, s2
	s_mov_b32 s47, s4
	ds_write2_b32 v46, v113, v112 offset0:8 offset1:9
	s_mov_b32 s44, s12
	s_mov_b32 s45, s14
	;; [unrolled: 1-line block ×3, first 2 shown]
	v_pk_mul_f32 v[112:113], v[82:83], s[46:47] op_sel_hi:[0,1]
	s_mov_b32 s40, s13
	v_pk_fma_f32 v[120:121], v[98:99], s[42:43], v[112:113] op_sel:[1,0,0]
	v_pk_mul_f32 v[122:123], v[58:59], s[44:45] op_sel_hi:[0,1]
	v_pk_add_f32 v[120:121], v[120:121], v[80:81] op_sel_hi:[1,0]
	v_pk_fma_f32 v[124:125], v[60:61], s[40:41], v[122:123] op_sel:[1,0,0]
	s_mov_b32 s44, s14
	s_mov_b32 s45, s12
	v_pk_add_f32 v[120:121], v[124:125], v[120:121]
	s_mov_b32 s39, 0x3f6f5d39
	v_pk_mul_f32 v[124:125], v[92:93], s[44:45] op_sel_hi:[0,1]
	v_pk_fma_f32 v[126:127], v[106:107], s[38:39], v[124:125] op_sel:[1,0,0]
	s_mov_b32 s44, s4
	v_pk_add_f32 v[120:121], v[126:127], v[120:121]
	v_pk_mul_f32 v[126:127], v[94:95], s[22:23] op_sel_hi:[0,1]
	v_pk_fma_f32 v[128:129], v[108:109], s[16:17], v[126:127] op_sel:[1,0,0]
	s_mov_b32 s45, s2
	v_pk_add_f32 v[120:121], v[128:129], v[120:121]
	;; [unrolled: 4-line block ×3, first 2 shown]
	s_mov_b32 s44, s17
	s_mov_b32 s45, s19
	v_pk_mul_f32 v[130:131], v[64:65], s[26:27] op_sel_hi:[0,1]
	v_pk_fma_f32 v[132:133], v[68:69], s[44:45], v[130:131] op_sel:[1,0,0]
	v_pk_add_f32 v[84:85], v[84:85], v[26:27]
	v_pk_add_f32 v[120:121], v[132:133], v[120:121]
	ds_write2_b32 v46, v121, v120 offset0:10 offset1:11
	v_mov_b32_e32 v120, v92
	v_mov_b32_e32 v121, v107
	v_pk_mul_f32 v[132:133], v[120:121], s[4:5]
	v_mov_b32_e32 v143, 0xbeedf032
	v_mov_b32_e32 v5, v132
	;; [unrolled: 1-line block ×5, first 2 shown]
	v_pk_mul_f32 v[136:137], v[132:133], s[12:13]
	v_pk_fma_f32 v[134:135], v[120:121], s[4:5], v[4:5] neg_lo:[1,0,0] neg_hi:[1,0,0]
	v_pk_fma_f32 v[120:121], v[120:121], s[4:5], v[78:79]
	v_mov_b32_e32 v5, v136
	v_mov_b32_e32 v78, v137
	;; [unrolled: 1-line block ×4, first 2 shown]
	v_pk_mul_f32 v[140:141], v[82:83], v[136:137]
	v_pk_add_f32 v[136:137], v[82:83], v[136:137]
	v_pk_fma_f32 v[138:139], v[132:133], s[12:13], v[4:5] neg_lo:[1,0,0] neg_hi:[1,0,0]
	v_mov_b32_e32 v141, v137
	v_mov_b32_e32 v136, v84
	;; [unrolled: 1-line block ×5, first 2 shown]
	v_pk_add_f32 v[84:85], v[84:85], v[38:39]
	v_pk_fma_f32 v[136:137], v[136:137], v[142:143], v[4:5] neg_lo:[1,0,0] neg_hi:[1,0,0]
	v_pk_add_f32 v[84:85], v[36:37], v[84:85]
	v_pk_fma_f32 v[132:133], v[132:133], s[12:13], v[78:79]
	v_mov_b32_e32 v85, v137
	v_pk_add_f32 v[84:85], v[84:85], v[48:49]
	v_mov_b32_e32 v78, v34
	v_pk_add_f32 v[78:79], v[84:85], v[78:79]
	v_mov_b32_e32 v134, v32
	v_pk_mul_f32 v[84:85], v[98:99], v[142:143]
	v_pk_add_f32 v[78:79], v[78:79], v[134:135]
	v_mov_b32_e32 v138, v30
	v_mov_b32_e32 v84, v85
	;; [unrolled: 1-line block ×3, first 2 shown]
	v_pk_add_f32 v[78:79], v[78:79], v[138:139]
	v_mov_b32_e32 v88, v28
	v_pk_add_f32 v[84:85], v[140:141], v[84:85]
	v_mov_b32_e32 v48, v49
	v_mov_b32_e32 v49, v18
	v_pk_add_f32 v[78:79], v[78:79], v[88:89]
	v_mov_b32_e32 v41, v97
	v_pk_add_f32 v[48:49], v[84:85], v[48:49]
	;; [unrolled: 2-line block ×3, first 2 shown]
	v_pk_add_f32 v[76:77], v[78:79], v[40:41]
	v_pk_fma_f32 v[78:79], v[98:99], s[42:43], v[112:113] op_sel:[1,0,0] neg_lo:[1,0,0] neg_hi:[1,0,0]
	ds_write2_b32 v46, v76, v77 offset1:1
	v_pk_fma_f32 v[76:77], v[60:61], s[40:41], v[122:123] op_sel:[1,0,0] neg_lo:[1,0,0] neg_hi:[1,0,0]
	v_pk_add_f32 v[78:79], v[78:79], v[80:81] op_sel_hi:[1,0]
	v_mov_b32_e32 v121, v16
	v_pk_add_f32 v[76:77], v[76:77], v[78:79]
	v_pk_fma_f32 v[78:79], v[106:107], s[38:39], v[124:125] op_sel:[1,0,0] neg_lo:[1,0,0] neg_hi:[1,0,0]
	v_mul_f32_e32 v20, 0x3f62ad3f, v58
	v_pk_add_f32 v[76:77], v[78:79], v[76:77]
	v_pk_fma_f32 v[78:79], v[108:109], s[16:17], v[126:127] op_sel:[1,0,0] neg_lo:[1,0,0] neg_hi:[1,0,0]
	v_mul_f32_e32 v28, 0x3eedf032, v61
	v_pk_add_f32 v[76:77], v[78:79], v[76:77]
	v_pk_fma_f32 v[78:79], v[66:67], s[20:21], v[128:129] op_sel:[1,0,0] neg_lo:[1,0,0] neg_hi:[1,0,0]
	v_pk_add_f32 v[48:49], v[120:121], v[48:49]
	v_pk_add_f32 v[76:77], v[78:79], v[76:77]
	v_pk_fma_f32 v[78:79], v[68:69], s[44:45], v[130:131] op_sel:[1,0,0] neg_lo:[1,0,0] neg_hi:[1,0,0]
	v_mov_b32_e32 v133, v14
	v_pk_add_f32 v[76:77], v[78:79], v[76:77]
	v_pk_fma_f32 v[78:79], v[98:99], s[18:19], v[100:101] op_sel:[1,0,0] neg_lo:[1,0,0] neg_hi:[1,0,0]
	ds_write2_b32 v46, v76, v77 offset0:2 offset1:3
	v_pk_fma_f32 v[76:77], v[60:61], s[24:25], v[102:103] op_sel:[1,0,0] neg_lo:[1,0,0] neg_hi:[1,0,0]
	v_pk_add_f32 v[78:79], v[78:79], v[80:81] op_sel_hi:[1,0]
	v_pk_add_f32 v[48:49], v[132:133], v[48:49]
	v_pk_add_f32 v[76:77], v[76:77], v[78:79]
	v_pk_fma_f32 v[78:79], v[106:107], s[28:29], v[104:105] op_sel:[1,0,0] neg_lo:[1,0,0] neg_hi:[1,0,0]
	v_mov_b32_e32 v87, v12
	v_pk_add_f32 v[76:77], v[78:79], v[76:77]
	v_pk_fma_f32 v[78:79], v[108:109], s[30:31], v[114:115] op_sel:[1,0,0] neg_lo:[1,0,0] neg_hi:[1,0,0]
	v_pk_add_f32 v[48:49], v[86:87], v[48:49]
	v_pk_add_f32 v[76:77], v[78:79], v[76:77]
	v_pk_fma_f32 v[78:79], v[66:67], s[34:35], v[116:117] op_sel:[1,0,0] neg_lo:[1,0,0] neg_hi:[1,0,0]
	v_mov_b32_e32 v91, v10
	v_pk_add_f32 v[76:77], v[78:79], v[76:77]
	v_pk_fma_f32 v[78:79], v[68:69], s[36:37], v[118:119] op_sel:[1,0,0] neg_lo:[1,0,0] neg_hi:[1,0,0]
	v_pk_add_f32 v[48:49], v[90:91], v[48:49]
	v_pk_add_f32 v[76:77], v[78:79], v[76:77]
	ds_write2_b32 v46, v76, v77 offset0:4 offset1:5
	v_pk_add_f32 v[76:77], v[20:21], v[28:29] neg_lo:[0,1] neg_hi:[0,1]
	v_pk_add_f32 v[78:79], v[20:21], v[28:29]
	v_mul_f32_e32 v20, 0xbf3f9e67, v92
	v_mul_f32_e32 v28, 0xbf29c268, v107
	v_mov_b32_e32 v77, v78
	v_pk_add_f32 v[78:79], v[20:21], v[28:29] neg_lo:[0,1] neg_hi:[0,1]
	v_pk_add_f32 v[84:85], v[20:21], v[28:29]
	v_mul_f32_e32 v20, 0x3f116cb1, v94
	v_mul_f32_e32 v28, 0x3f52af12, v109
	v_mov_b32_e32 v79, v84
	;; [unrolled: 5-line block ×5, first 2 shown]
	v_pk_add_f32 v[82:83], v[20:21], v[28:29] neg_lo:[0,1] neg_hi:[0,1]
	v_pk_add_f32 v[90:91], v[20:21], v[28:29]
	v_pk_add_f32 v[96:97], v[74:75], v[10:11]
	v_mov_b32_e32 v83, v90
	v_pk_add_f32 v[82:83], v[82:83], v[80:81] op_sel_hi:[1,0]
	v_pk_add_f32 v[74:75], v[74:75], v[10:11] neg_lo:[0,1] neg_hi:[0,1]
	v_pk_add_f32 v[76:77], v[76:77], v[82:83]
	v_mul_f32_e32 v10, 0xbeedf032, v75
	v_pk_add_f32 v[76:77], v[78:79], v[76:77]
	v_pk_add_f32 v[78:79], v[72:73], v[12:13] neg_lo:[0,1] neg_hi:[0,1]
	v_pk_add_f32 v[76:77], v[84:85], v[76:77]
	v_fma_f32 v5, v96, s23, -v10
	v_pk_add_f32 v[76:77], v[86:87], v[76:77]
	v_pk_add_f32 v[98:99], v[72:73], v[12:13]
	;; [unrolled: 1-line block ×3, first 2 shown]
	ds_write2_b32 v46, v76, v77 offset0:6 offset1:7
	v_mul_f32_e32 v12, 0xbf52af12, v79
	v_pk_add_f32 v[76:77], v[70:71], v[14:15] neg_lo:[0,1] neg_hi:[0,1]
	v_add_f32_e32 v5, v8, v5
	v_fma_f32 v20, v98, s2, -v12
	v_pk_add_f32 v[100:101], v[70:71], v[14:15]
	v_mul_f32_e32 v14, 0xbf7e222b, v77
	v_add_f32_e32 v5, v5, v20
	v_fma_f32 v20, v100, s4, -v14
	v_pk_add_f32 v[72:73], v[44:45], v[16:17] neg_lo:[0,1] neg_hi:[0,1]
	v_add_f32_e32 v5, v5, v20
	v_mul_f32_e32 v20, 0xbf6f5d39, v73
	v_pk_add_f32 v[102:103], v[44:45], v[16:17]
	v_pk_add_f32 v[70:71], v[22:23], v[18:19] neg_lo:[0,1] neg_hi:[0,1]
	v_fma_f32 v16, v102, s12, -v20
	v_add_f32_e32 v5, v5, v16
	v_mul_f32_e32 v16, 0xbe750f2a, v71
	v_pk_add_f32 v[104:105], v[22:23], v[18:19]
	v_add_f32_e32 v5, v5, v144
	v_cmp_lt_u32_e64 s[2:3], 2, v4
	v_fma_f32 v18, v104, s14, -v16
	ds_write_b32 v46, v48 offset:48
	s_and_saveexec_b64 s[4:5], s[2:3]
	s_xor_b64 s[4:5], exec, s[4:5]
; %bb.15:
                                        ; implicit-def: $vgpr10
                                        ; implicit-def: $vgpr12
                                        ; implicit-def: $vgpr14
                                        ; implicit-def: $vgpr20
                                        ; implicit-def: $vgpr110
                                        ; implicit-def: $vgpr16
; %bb.16:
	s_or_saveexec_b64 s[4:5], s[4:5]
	v_add_f32_e32 v5, v5, v18
	s_xor_b64 exec, exec, s[4:5]
	s_cbranch_execz .LBB0_18
; %bb.17:
	v_mul_f32_e32 v41, 0x3f62ad3f, v96
	v_mul_f32_e32 v83, 0x3f116cb1, v98
	s_mov_b32 s38, 0xbeb58ec6
	v_add_f32_e32 v10, v10, v41
	v_mul_f32_e32 v85, 0x3df6dbef, v100
	s_mov_b32 s39, 0xbf3f9e67
	v_add_f32_e32 v10, v8, v10
	v_add_f32_e32 v12, v12, v83
	v_mul_f32_e32 v87, 0xbeb58ec6, v102
	s_mov_b32 s14, 0x3eedf032
	s_mov_b32 s37, 0x3f116cb1
	;; [unrolled: 1-line block ×4, first 2 shown]
	v_add_f32_e32 v10, v10, v12
	v_add_f32_e32 v12, v14, v85
	v_mul_f32_e32 v132, 0xbf3f9e67, v56
	s_mov_b32 s29, 0xbf788fa5
	s_mov_b32 s15, 0xbf52af12
	v_pk_mul_f32 v[90:91], v[98:99], s[34:35] op_sel_hi:[0,1]
	s_mov_b32 s28, s35
	s_mov_b32 s22, 0xbf7e222b
	;; [unrolled: 1-line block ×5, first 2 shown]
	v_add_f32_e32 v10, v10, v12
	v_add_f32_e32 v12, v20, v87
	v_mul_f32_e32 v133, 0xbf788fa5, v104
	s_mov_b32 s18, 0xbf6f5d39
	v_pk_mul_f32 v[114:115], v[102:103], s[28:29] op_sel_hi:[0,1]
	s_mov_b32 s23, 0x3e750f2a
	v_pk_mul_f32 v[118:119], v[104:105], s[26:27] op_sel_hi:[0,1]
	v_pk_mul_f32 v[120:121], v[96:97], s[34:35] op_sel_hi:[0,1]
	s_mov_b32 s26, s15
	s_mov_b32 s27, s22
	;; [unrolled: 1-line block ×3, first 2 shown]
	v_add_f32_e32 v10, v10, v12
	v_add_f32_e32 v12, v110, v132
	s_mov_b32 s13, 0xbe750f2a
	s_mov_b32 s36, 0x3f62ad3f
	;; [unrolled: 1-line block ×4, first 2 shown]
	v_pk_mul_f32 v[122:123], v[98:99], s[28:29] op_sel_hi:[0,1]
	s_mov_b32 s12, s18
	s_mov_b32 s28, s29
	;; [unrolled: 1-line block ×3, first 2 shown]
	v_add_f32_e32 v10, v10, v12
	v_add_f32_e32 v12, v16, v133
	v_pk_fma_f32 v[132:133], v[74:75], s[26:27], v[120:121] op_sel:[1,0,0] neg_lo:[1,0,0] neg_hi:[1,0,0]
	s_mov_b32 s20, 0x3f29c268
	v_pk_mul_f32 v[124:125], v[100:101], s[28:29] op_sel_hi:[0,1]
	s_mov_b32 s29, 0x3f6f5d39
	s_mov_b32 s28, s13
	;; [unrolled: 1-line block ×4, first 2 shown]
	v_pk_add_f32 v[132:133], v[8:9], v[132:133] op_sel_hi:[0,1]
	v_pk_fma_f32 v[134:135], v[78:79], s[12:13], v[122:123] op_sel:[1,0,0] neg_lo:[1,0,0] neg_hi:[1,0,0]
	s_mov_b32 s21, 0x3f7e222b
	v_pk_mul_f32 v[126:127], v[102:103], s[30:31] op_sel_hi:[0,1]
	s_mov_b32 s30, s20
	s_mov_b32 s31, s14
	;; [unrolled: 1-line block ×4, first 2 shown]
	v_pk_add_f32 v[132:133], v[132:133], v[134:135]
	v_pk_fma_f32 v[134:135], v[76:77], s[28:29], v[124:125] op_sel:[1,0,0] neg_lo:[1,0,0] neg_hi:[1,0,0]
	v_pk_mul_f32 v[112:113], v[100:101], s[36:37] op_sel_hi:[0,1]
	v_pk_mul_f32 v[128:129], v[56:57], s[34:35] op_sel_hi:[0,1]
	s_mov_b32 s34, s21
	s_mov_b32 s35, s15
	;; [unrolled: 1-line block ×3, first 2 shown]
	v_pk_add_f32 v[132:133], v[132:133], v[134:135]
	v_pk_fma_f32 v[134:135], v[72:73], s[30:31], v[126:127] op_sel:[1,0,0] neg_lo:[1,0,0] neg_hi:[1,0,0]
	s_mov_b32 s25, s36
	v_pk_mul_f32 v[130:131], v[104:105], s[36:37] op_sel_hi:[0,1]
	s_mov_b32 s36, s14
	s_mov_b32 s37, s19
	v_pk_add_f32 v[132:133], v[132:133], v[134:135]
	v_pk_fma_f32 v[134:135], v[0:1], s[34:35], v[128:129] op_sel:[1,0,0] neg_lo:[1,0,0] neg_hi:[1,0,0]
	v_pk_mul_f32 v[88:89], v[96:97], s[38:39] op_sel_hi:[0,1]
	v_pk_add_f32 v[132:133], v[132:133], v[134:135]
	v_pk_fma_f32 v[134:135], v[70:71], s[36:37], v[130:131] op_sel:[1,0,0] neg_lo:[1,0,0] neg_hi:[1,0,0]
	v_add_f32_e32 v12, v10, v12
	v_add_u32_e32 v10, 0x7f4, v46
	v_pk_add_f32 v[132:133], v[132:133], v[134:135]
	ds_write2_b32 v10, v132, v133 offset1:1
	v_pk_fma_f32 v[132:133], v[74:75], s[18:19], v[88:89] op_sel:[1,0,0] neg_lo:[1,0,0] neg_hi:[1,0,0]
	v_pk_fma_f32 v[134:135], v[78:79], s[20:21], v[90:91] op_sel:[1,0,0] neg_lo:[1,0,0] neg_hi:[1,0,0]
	v_pk_add_f32 v[132:133], v[8:9], v[132:133] op_sel_hi:[0,1]
	v_pk_add_f32 v[132:133], v[132:133], v[134:135]
	v_pk_fma_f32 v[134:135], v[76:77], s[14:15], v[112:113] op_sel:[1,0,0] neg_lo:[1,0,0] neg_hi:[1,0,0]
	v_pk_mul_f32 v[116:117], v[56:57], s[24:25] op_sel_hi:[0,1]
	s_mov_b32 s24, s23
	s_mov_b32 s25, s14
	v_pk_add_f32 v[132:133], v[132:133], v[134:135]
	v_pk_fma_f32 v[134:135], v[72:73], s[22:23], v[114:115] op_sel:[1,0,0] neg_lo:[1,0,0] neg_hi:[1,0,0]
	s_mov_b32 s16, 0x3f52af12
	s_mov_b32 s17, s18
	v_pk_add_f32 v[132:133], v[132:133], v[134:135]
	v_pk_fma_f32 v[134:135], v[0:1], s[24:25], v[116:117] op_sel:[1,0,0] neg_lo:[1,0,0] neg_hi:[1,0,0]
	v_mul_f32_e32 v18, 0xbf788fa5, v96
	v_pk_add_f32 v[132:133], v[132:133], v[134:135]
	v_pk_fma_f32 v[134:135], v[70:71], s[16:17], v[118:119] op_sel:[1,0,0] neg_lo:[1,0,0] neg_hi:[1,0,0]
	v_mul_f32_e32 v28, 0xbe750f2a, v75
	v_add_u32_e32 v10, 0x7fc, v46
	v_pk_add_f32 v[132:133], v[132:133], v[134:135]
	v_mul_f32_e32 v30, 0x3f62ad3f, v98
	v_mul_f32_e32 v32, 0x3eedf032, v79
	ds_write2_b32 v10, v132, v133 offset1:1
	v_pk_add_f32 v[132:133], v[18:19], v[28:29] neg_lo:[0,1] neg_hi:[0,1]
	v_pk_add_f32 v[134:135], v[18:19], v[28:29]
	v_pk_add_f32 v[136:137], v[30:31], v[32:33]
	v_mov_b32_e32 v133, v134
	v_pk_add_f32 v[134:135], v[30:31], v[32:33] neg_lo:[0,1] neg_hi:[0,1]
	v_mul_f32_e32 v34, 0xbf3f9e67, v100
	v_mul_f32_e32 v36, 0xbf29c268, v77
	v_pk_add_f32 v[132:133], v[8:9], v[132:133] op_sel_hi:[0,1]
	v_mov_b32_e32 v135, v136
	v_pk_add_f32 v[132:133], v[132:133], v[134:135]
	v_pk_add_f32 v[134:135], v[34:35], v[36:37] neg_lo:[0,1] neg_hi:[0,1]
	v_pk_add_f32 v[136:137], v[34:35], v[36:37]
	v_mul_f32_e32 v38, 0x3f116cb1, v102
	v_mul_f32_e32 v44, 0x3f52af12, v73
	v_mov_b32_e32 v135, v136
	v_pk_add_f32 v[132:133], v[132:133], v[134:135]
	v_pk_add_f32 v[134:135], v[38:39], v[44:45] neg_lo:[0,1] neg_hi:[0,1]
	v_pk_add_f32 v[136:137], v[38:39], v[44:45]
	v_mul_f32_e32 v80, 0xbeb58ec6, v56
	v_mul_f32_e32 v82, 0xbf6f5d39, v1
	;; [unrolled: 6-line block ×3, first 2 shown]
	v_mov_b32_e32 v135, v82
	v_pk_add_f32 v[82:83], v[132:133], v[134:135]
	v_pk_add_f32 v[132:133], v[84:85], v[86:87] neg_lo:[0,1] neg_hi:[0,1]
	v_pk_add_f32 v[84:85], v[84:85], v[86:87]
	v_add_u32_e32 v10, 0x804, v46
	v_mov_b32_e32 v133, v84
	v_pk_add_f32 v[82:83], v[82:83], v[132:133]
	ds_write2_b32 v10, v82, v83 offset1:1
	v_pk_fma_f32 v[82:83], v[74:75], s[18:19], v[88:89] op_sel:[1,0,0]
	v_pk_fma_f32 v[84:85], v[78:79], s[20:21], v[90:91] op_sel:[1,0,0]
	v_pk_add_f32 v[82:83], v[8:9], v[82:83] op_sel_hi:[0,1]
	v_pk_add_f32 v[82:83], v[82:83], v[84:85]
	v_pk_fma_f32 v[84:85], v[76:77], s[14:15], v[112:113] op_sel:[1,0,0]
	v_add_u32_e32 v14, 0x7ec, v46
	v_pk_add_f32 v[82:83], v[82:83], v[84:85]
	v_pk_fma_f32 v[84:85], v[72:73], s[22:23], v[114:115] op_sel:[1,0,0]
	ds_write2_b32 v14, v49, v5 offset1:1
	v_pk_add_f32 v[82:83], v[82:83], v[84:85]
	v_pk_fma_f32 v[84:85], v[0:1], s[24:25], v[116:117] op_sel:[1,0,0]
	v_add_u32_e32 v14, 0x80c, v46
	v_pk_add_f32 v[82:83], v[82:83], v[84:85]
	v_pk_fma_f32 v[84:85], v[70:71], s[16:17], v[118:119] op_sel:[1,0,0]
	s_nop 0
	v_pk_add_f32 v[82:83], v[82:83], v[84:85]
	ds_write2_b32 v14, v83, v82 offset1:1
	v_pk_fma_f32 v[82:83], v[74:75], s[26:27], v[120:121] op_sel:[1,0,0]
	v_pk_fma_f32 v[84:85], v[78:79], s[12:13], v[122:123] op_sel:[1,0,0]
	v_pk_add_f32 v[82:83], v[8:9], v[82:83] op_sel_hi:[0,1]
	v_pk_add_f32 v[82:83], v[82:83], v[84:85]
	v_pk_fma_f32 v[84:85], v[76:77], s[28:29], v[124:125] op_sel:[1,0,0]
	v_add_u32_e32 v14, 0x814, v46
	v_pk_add_f32 v[82:83], v[82:83], v[84:85]
	v_pk_fma_f32 v[84:85], v[72:73], s[30:31], v[126:127] op_sel:[1,0,0]
	s_nop 0
	v_pk_add_f32 v[82:83], v[82:83], v[84:85]
	v_pk_fma_f32 v[84:85], v[0:1], s[34:35], v[128:129] op_sel:[1,0,0]
	s_nop 0
	;; [unrolled: 3-line block ×3, first 2 shown]
	v_pk_add_f32 v[82:83], v[82:83], v[84:85]
	ds_write2_b32 v14, v83, v82 offset1:1
	ds_write_b32 v46, v12 offset:2076
	v_mov_b32_e32 v10, v83
	v_mov_b32_e32 v41, v82
.LBB0_18:
	s_or_b64 exec, exec, s[4:5]
	v_lshlrev_b32_e32 v32, 2, v111
	v_lshlrev_b32_e32 v10, 2, v4
	v_add3_u32 v30, 0, v10, v32
	v_add3_u32 v28, 0, v32, v10
	v_add_u32_e32 v12, 0x400, v30
	v_add_u32_e32 v10, 0x200, v30
	s_waitcnt lgkmcnt(0)
	s_barrier
	ds_read2_b32 v[82:83], v30 offset0:117 offset1:182
	ds_read2_b32 v[86:87], v12 offset0:43 offset1:108
	;; [unrolled: 1-line block ×5, first 2 shown]
	ds_read_b32 v34, v28
	ds_read_b32 v36, v30 offset:1924
	v_cmp_gt_u32_e32 vcc, 26, v4
	s_and_saveexec_b64 s[4:5], vcc
	s_cbranch_execz .LBB0_20
; %bb.19:
	ds_read2_b32 v[48:49], v10 offset0:28 offset1:210
	ds_read_b32 v5, v30 offset:2080
.LBB0_20:
	s_or_b64 exec, exec, s[4:5]
	v_pk_add_f32 v[110:111], v[24:25], v[26:27]
	s_mov_b32 s14, 0x3f116cb1
	v_pk_add_f32 v[110:111], v[110:111], v[52:53]
	v_mov_b32_e32 v52, v59
	v_mov_b32_e32 v53, v60
	s_mov_b32 s15, 0xbf52af12
	s_mov_b32 s16, 0x3df6dbef
	v_pk_mul_f32 v[112:113], v[52:53], s[14:15]
	v_pk_add_f32 v[50:51], v[110:111], v[50:51]
	v_mov_b32_e32 v110, v93
	v_mov_b32_e32 v111, v106
	s_mov_b32 s17, 0xbf7e222b
	v_mov_b32_e32 v41, v112
	v_mov_b32_e32 v10, v113
	v_pk_mul_f32 v[112:113], v[110:111], s[16:17]
	v_mov_b32_e32 v80, v27
	v_mov_b32_e32 v44, v47
	;; [unrolled: 1-line block ×4, first 2 shown]
	v_pk_fma_f32 v[114:115], v[52:53], s[14:15], v[40:41]
	v_pk_fma_f32 v[52:53], v[52:53], s[14:15], v[10:11] neg_lo:[0,0,1] neg_hi:[0,0,1]
	v_mov_b32_e32 v41, v112
	v_mov_b32_e32 v10, v113
	;; [unrolled: 1-line block ×4, first 2 shown]
	s_mov_b32 s19, 0xbf6f5d39
	s_mov_b32 s18, 0xbeb58ec6
	v_pk_add_f32 v[26:27], v[80:81], v[44:45]
	v_mov_b32_e32 v44, 0x3f62ad3f
	v_mov_b32_e32 v45, v43
	v_pk_add_f32 v[138:139], v[50:51], v[54:55]
	v_pk_add_f32 v[50:51], v[54:55], v[50:51] neg_lo:[0,1] neg_hi:[0,1]
	v_mov_b32_e32 v55, 0xbeedf032
	v_mov_b32_e32 v54, v39
	v_pk_mul_f32 v[118:119], v[112:113], s[18:19]
	v_mov_b32_e32 v122, v108
	v_mov_b32_e32 v123, v106
	s_mov_b32 s21, 0xbf29c268
	s_mov_b32 s20, 0x3f52af12
	v_pk_mul_f32 v[80:81], v[26:27], v[44:45]
	v_pk_add_f32 v[38:39], v[138:139], v[54:55]
	v_pk_mul_f32 v[54:55], v[50:51], v[54:55]
	v_pk_fma_f32 v[116:117], v[110:111], s[16:17], v[40:41]
	v_pk_fma_f32 v[110:111], v[110:111], s[16:17], v[10:11] neg_lo:[0,0,1] neg_hi:[0,0,1]
	v_mov_b32_e32 v41, v118
	v_mov_b32_e32 v10, v119
	v_mov_b32_e32 v118, v95
	v_mov_b32_e32 v119, v93
	s_mov_b32 s5, 0xbf3f9e67
	s_mov_b32 s4, s14
	v_pk_mul_f32 v[122:123], v[122:123], s[20:21]
	v_mov_b32_e32 v39, v55
	v_mov_b32_e32 v138, v37
	;; [unrolled: 1-line block ×3, first 2 shown]
	v_pk_fma_f32 v[124:125], v[118:119], s[4:5], v[122:123]
	v_pk_fma_f32 v[118:119], v[118:119], s[4:5], v[122:123] neg_lo:[0,0,1] neg_hi:[0,0,1]
	v_mov_b32_e32 v122, v63
	v_mov_b32_e32 v123, v66
	s_mov_b32 s12, s5
	s_mov_b32 s13, s21
	v_pk_add_f32 v[38:39], v[38:39], v[138:139]
	v_pk_mul_f32 v[126:127], v[122:123], s[12:13]
	s_mov_b32 s23, 0xbe750f2a
	v_pk_add_f32 v[38:39], v[38:39], v[24:25]
	v_mov_b32_e32 v114, v35
	v_pk_fma_f32 v[120:121], v[112:113], s[18:19], v[40:41]
	v_pk_fma_f32 v[112:113], v[112:113], s[18:19], v[10:11] neg_lo:[0,0,1] neg_hi:[0,0,1]
	v_mov_b32_e32 v41, v126
	v_mov_b32_e32 v10, v127
	v_pk_mul_f32 v[130:131], v[122:123], s[18:19]
	s_mov_b32 s22, 0xbf788fa5
	v_pk_add_f32 v[38:39], v[38:39], v[114:115]
	v_mov_b32_e32 v114, v60
	v_mov_b32_e32 v115, v51
	s_mov_b32 s38, 0x3eedf032
	s_mov_b32 s39, s23
	v_pk_fma_f32 v[128:129], v[122:123], s[12:13], v[40:41]
	v_pk_fma_f32 v[126:127], v[122:123], s[12:13], v[10:11] neg_lo:[0,0,1] neg_hi:[0,0,1]
	v_mov_b32_e32 v10, v131
	v_mov_b32_e32 v41, v130
	v_mov_b32_e32 v130, v65
	v_mov_b32_e32 v131, v68
	s_mov_b32 s12, 0x3f62ad3f
	v_mov_b32_e32 v116, v33
	v_mov_b32_e32 v80, v59
	;; [unrolled: 1-line block ×3, first 2 shown]
	s_mov_b32 s13, s22
	v_pk_mul_f32 v[114:115], v[114:115], s[38:39]
	v_pk_mul_f32 v[134:135], v[130:131], s[22:23]
	v_pk_add_f32 v[38:39], v[38:39], v[116:117]
	v_mov_b32_e32 v120, v31
	v_pk_fma_f32 v[116:117], v[80:81], s[12:13], v[114:115]
	v_pk_fma_f32 v[132:133], v[122:123], s[18:19], v[10:11]
	v_pk_fma_f32 v[122:123], v[122:123], s[18:19], v[40:41] neg_lo:[1,0,0] neg_hi:[1,0,0]
	v_mov_b32_e32 v41, v134
	v_mov_b32_e32 v10, v135
	v_pk_add_f32 v[38:39], v[38:39], v[120:121]
	v_pk_add_f32 v[120:121], v[116:117], v[24:25]
	v_pk_fma_f32 v[80:81], v[80:81], s[12:13], v[114:115] neg_lo:[0,0,1] neg_hi:[0,0,1]
	v_pk_fma_f32 v[136:137], v[130:131], s[22:23], v[40:41]
	v_pk_fma_f32 v[130:131], v[130:131], s[22:23], v[10:11] neg_lo:[0,0,1] neg_hi:[0,0,1]
	v_pk_add_f32 v[114:115], v[80:81], v[24:25]
	v_mov_b32_e32 v10, v121
	v_pk_add_f32 v[116:117], v[116:117], v[10:11]
	v_mov_b32_e32 v10, v115
	v_pk_add_f32 v[80:81], v[80:81], v[10:11]
	v_mov_b32_e32 v10, v125
	s_mov_b32 s44, s15
	s_mov_b32 s45, s17
	v_pk_add_f32 v[114:115], v[10:11], v[116:117]
	v_mov_b32_e32 v10, v119
	s_mov_b32 s28, s19
	s_mov_b32 s29, s23
	;; [unrolled: 1-line block ×4, first 2 shown]
	v_pk_mul_f32 v[148:149], v[50:51], s[44:45] op_sel:[1,0]
	v_pk_add_f32 v[80:81], v[10:11], v[80:81]
	s_mov_b32 s24, s18
	s_mov_b32 s25, s22
	v_pk_mul_f32 v[116:117], v[60:61], s[28:29] op_sel_hi:[0,1]
	s_mov_b32 s31, 0x3f6f5d39
	s_mov_b32 s30, s23
	v_pk_fma_f32 v[150:151], v[26:27], s[42:43], v[148:149] op_sel_hi:[0,1,1]
	s_mov_b32 s26, 0x3f7e222b
	v_mov_b32_e32 v128, v29
	v_pk_add_f32 v[80:81], v[118:119], v[80:81]
	v_pk_fma_f32 v[118:119], v[58:59], s[24:25], v[116:117] op_sel:[1,0,0]
	s_mov_b32 s28, s22
	s_mov_b32 s29, s18
	v_pk_mul_f32 v[120:121], v[106:107], s[30:31] op_sel_hi:[0,1]
	s_mov_b32 s40, 0x3f29c268
	s_mov_b32 s41, s38
	;; [unrolled: 1-line block ×3, first 2 shown]
	v_pk_add_f32 v[150:151], v[150:151], v[24:25] op_sel:[0,1]
	v_pk_add_f32 v[38:39], v[38:39], v[128:129]
	v_pk_add_f32 v[114:115], v[124:125], v[114:115]
	v_pk_fma_f32 v[124:125], v[92:93], s[28:29], v[120:121] op_sel:[1,0,0]
	s_mov_b32 s30, s5
	s_mov_b32 s31, s12
	v_pk_mul_f32 v[128:129], v[108:109], s[40:41] op_sel_hi:[0,1]
	s_mov_b32 s34, s16
	s_mov_b32 s35, s14
	v_pk_mul_f32 v[140:141], v[66:67], s[26:27] op_sel_hi:[0,1]
	v_pk_add_f32 v[118:119], v[118:119], v[150:151]
	v_pk_fma_f32 v[138:139], v[94:95], s[30:31], v[128:129] op_sel:[1,0,0]
	v_pk_fma_f32 v[142:143], v[62:63], s[34:35], v[140:141] op_sel:[1,0,0]
	s_mov_b32 s39, s21
	v_pk_add_f32 v[118:119], v[124:125], v[118:119]
	v_pk_fma_f32 v[124:125], v[94:95], s[30:31], v[128:129] op_sel:[1,0,0] neg_lo:[0,0,1] neg_hi:[0,0,1]
	v_pk_fma_f32 v[128:129], v[62:63], s[34:35], v[140:141] op_sel:[1,0,0] neg_lo:[0,0,1] neg_hi:[0,0,1]
	v_pk_fma_f32 v[140:141], v[26:27], s[42:43], v[148:149] op_sel_hi:[0,1,1] neg_lo:[0,0,1] neg_hi:[0,0,1]
	s_mov_b32 s42, s20
	s_mov_b32 s20, s19
	v_pk_add_f32 v[42:43], v[26:27], v[42:43]
	s_mov_b32 s13, s5
	v_pk_mul_f32 v[144:145], v[68:69], s[38:39] op_sel_hi:[0,1]
	s_mov_b32 s4, s18
	v_pk_mul_f32 v[50:51], v[50:51], s[20:21] op_sel:[1,0]
	v_mov_b32_e32 v10, v55
	v_pk_fma_f32 v[146:147], v[64:65], s[12:13], v[144:145] op_sel:[1,0,0]
	v_pk_add_f32 v[118:119], v[138:139], v[118:119]
	v_pk_fma_f32 v[138:139], v[64:65], s[12:13], v[144:145] op_sel:[1,0,0] neg_lo:[0,0,1] neg_hi:[0,0,1]
	v_pk_fma_f32 v[144:145], v[26:27], s[4:5], v[50:51] op_sel_hi:[0,1,1]
	v_pk_fma_f32 v[50:51], v[26:27], s[4:5], v[50:51] op_sel_hi:[0,1,1] neg_lo:[0,0,1] neg_hi:[0,0,1]
	v_pk_fma_f32 v[26:27], v[26:27], v[44:45], v[10:11] neg_lo:[0,0,1] neg_hi:[0,0,1]
	v_pk_add_f32 v[22:23], v[42:43], v[22:23]
	v_mov_b32_e32 v18, v25
	v_mov_b32_e32 v27, v23
	v_pk_add_f32 v[18:19], v[26:27], v[18:19]
	v_mov_b32_e32 v53, v21
	v_pk_add_f32 v[18:19], v[52:53], v[18:19]
	v_mov_b32_e32 v111, v17
	s_mov_b32 s35, 0x3e750f2a
	s_mov_b32 s34, s17
	v_pk_add_f32 v[16:17], v[110:111], v[18:19]
	v_mov_b32_e32 v113, v15
	s_mov_b32 s36, 0xbeedf032
	v_pk_mul_f32 v[108:109], v[108:109], s[34:35] op_sel_hi:[0,1]
	s_mov_b32 s34, s35
	s_mov_b32 s35, s38
	v_pk_add_f32 v[14:15], v[112:113], v[16:17]
	v_mov_b32_e32 v127, v13
	s_mov_b32 s37, s15
	s_mov_b32 s13, s14
	v_pk_mul_f32 v[66:67], v[66:67], s[34:35] op_sel_hi:[0,1]
	s_mov_b32 s35, s18
	v_pk_add_f32 v[12:13], v[126:127], v[14:15]
	v_mov_b32_e32 v131, v11
	v_pk_mul_f32 v[14:15], v[74:75], s[36:37] op_sel_hi:[0,1]
	s_mov_b32 s18, s15
	s_mov_b32 s34, s14
	v_pk_add_f32 v[10:11], v[130:131], v[12:13]
	v_pk_fma_f32 v[12:13], v[96:97], s[12:13], v[14:15] op_sel:[1,0,0]
	v_pk_mul_f32 v[16:17], v[78:79], s[18:19] op_sel_hi:[0,1]
	s_mov_b32 s31, s22
	v_pk_add_f32 v[12:13], v[8:9], v[12:13] op_sel:[1,0]
	v_pk_fma_f32 v[18:19], v[98:99], s[34:35], v[16:17] op_sel:[1,0,0]
	s_mov_b32 s22, s17
	s_mov_b32 s30, s16
	v_pk_add_f32 v[12:13], v[12:13], v[18:19]
	v_pk_mul_f32 v[18:19], v[76:77], s[22:23] op_sel_hi:[0,1]
	v_pk_fma_f32 v[116:117], v[58:59], s[24:25], v[116:117] op_sel:[1,0,0] neg_lo:[0,0,1] neg_hi:[0,0,1]
	v_pk_add_f32 v[140:141], v[140:141], v[24:25] op_sel:[0,1]
	s_mov_b32 s41, s26
	s_mov_b32 s39, s15
	v_pk_fma_f32 v[20:21], v[100:101], s[30:31], v[18:19] op_sel:[1,0,0]
	s_mov_b32 s14, s19
	s_mov_b32 s15, s40
	v_pk_fma_f32 v[120:121], v[92:93], s[28:29], v[120:121] op_sel:[1,0,0] neg_lo:[0,0,1] neg_hi:[0,0,1]
	v_pk_add_f32 v[116:117], v[116:117], v[140:141]
	s_mov_b32 s24, s5
	s_mov_b32 s25, s16
	v_pk_mul_f32 v[60:61], v[60:61], s[40:41] op_sel_hi:[0,1]
	v_pk_add_f32 v[12:13], v[12:13], v[20:21]
	v_pk_mul_f32 v[20:21], v[72:73], s[14:15] op_sel_hi:[0,1]
	v_pk_add_f32 v[116:117], v[120:121], v[116:117]
	v_pk_fma_f32 v[120:121], v[58:59], s[24:25], v[60:61] op_sel:[1,0,0]
	v_pk_mul_f32 v[106:107], v[106:107], s[38:39] op_sel_hi:[0,1]
	v_pk_add_f32 v[144:145], v[144:145], v[24:25] op_sel:[0,1]
	v_pk_fma_f32 v[58:59], v[58:59], s[24:25], v[60:61] op_sel:[1,0,0] neg_lo:[0,0,1] neg_hi:[0,0,1]
	v_pk_add_f32 v[50:51], v[50:51], v[24:25] op_sel:[0,1]
	v_pk_fma_f32 v[22:23], v[102:103], s[4:5], v[20:21] op_sel:[1,0,0]
	s_mov_b32 s14, s21
	s_mov_b32 s15, s26
	v_pk_add_f32 v[116:117], v[124:125], v[116:117]
	v_pk_fma_f32 v[124:125], v[92:93], s[12:13], v[106:107] op_sel:[1,0,0]
	v_pk_add_f32 v[120:121], v[120:121], v[144:145]
	v_pk_fma_f32 v[60:61], v[92:93], s[12:13], v[106:107] op_sel:[1,0,0] neg_lo:[0,0,1] neg_hi:[0,0,1]
	v_pk_add_f32 v[50:51], v[58:59], v[50:51]
	v_pk_add_f32 v[12:13], v[12:13], v[22:23]
	v_pk_mul_f32 v[22:23], v[0:1], s[14:15] op_sel_hi:[0,1]
	v_mul_f32_e32 v41, 0x3df6dbef, v65
	v_mul_f32_e32 v135, 0x3f7e222b, v68
	v_pk_add_f32 v[116:117], v[128:129], v[116:117]
	v_pk_fma_f32 v[128:129], v[94:95], s[30:31], v[108:109] op_sel:[1,0,0]
	s_mov_b32 s29, s12
	s_mov_b32 s43, s19
	v_pk_add_f32 v[120:121], v[124:125], v[120:121]
	v_pk_fma_f32 v[92:93], v[94:95], s[30:31], v[108:109] op_sel:[1,0,0] neg_lo:[0,0,1] neg_hi:[0,0,1]
	v_pk_add_f32 v[50:51], v[60:61], v[50:51]
	v_mov_b32_e32 v40, v114
	v_mov_b32_e32 v134, v132
	v_pk_fma_f32 v[24:25], v[56:57], s[24:25], v[22:23] op_sel:[1,0,0]
	s_mov_b32 s14, s23
	s_mov_b32 s15, s38
	v_pk_fma_f32 v[140:141], v[62:63], s[28:29], v[66:67] op_sel:[1,0,0]
	v_pk_mul_f32 v[68:69], v[68:69], s[42:43] op_sel_hi:[0,1]
	v_pk_add_f32 v[120:121], v[128:129], v[120:121]
	v_pk_fma_f32 v[62:63], v[62:63], s[28:29], v[66:67] op_sel:[1,0,0] neg_lo:[0,0,1] neg_hi:[0,0,1]
	v_pk_add_f32 v[50:51], v[92:93], v[50:51]
	v_pk_add_f32 v[58:59], v[114:115], v[132:133]
	v_pk_add_f32 v[60:61], v[40:41], v[134:135] neg_lo:[0,1] neg_hi:[0,1]
	v_mov_b32_e32 v40, v41
	v_mov_b32_e32 v41, v80
	;; [unrolled: 1-line block ×4, first 2 shown]
	v_pk_add_f32 v[12:13], v[12:13], v[24:25]
	v_pk_mul_f32 v[24:25], v[70:71], s[14:15] op_sel_hi:[0,1]
	v_pk_add_f32 v[118:119], v[142:143], v[118:119]
	v_pk_fma_f32 v[142:143], v[64:65], s[34:35], v[68:69] op_sel:[1,0,0]
	v_pk_add_f32 v[120:121], v[140:141], v[120:121]
	v_pk_fma_f32 v[64:65], v[64:65], s[34:35], v[68:69] op_sel:[1,0,0] neg_lo:[0,0,1] neg_hi:[0,0,1]
	v_pk_add_f32 v[50:51], v[62:63], v[50:51]
	v_mov_b32_e32 v59, v61
	v_pk_add_f32 v[40:41], v[40:41], v[122:123]
	v_pk_add_f32 v[38:39], v[38:39], v[136:137]
	;; [unrolled: 1-line block ×3, first 2 shown]
	v_pk_fma_f32 v[26:27], v[104:105], s[28:29], v[24:25] op_sel:[1,0,0]
	v_pk_add_f32 v[42:43], v[146:147], v[118:119]
	v_pk_add_f32 v[52:53], v[142:143], v[120:121]
	;; [unrolled: 1-line block ×4, first 2 shown]
	s_waitcnt lgkmcnt(0)
	s_barrier
	ds_write2_b32 v46, v38, v39 offset1:1
	ds_write2_b32 v46, v42, v43 offset0:2 offset1:3
	ds_write2_b32 v46, v52, v53 offset0:4 offset1:5
	;; [unrolled: 1-line block ×4, first 2 shown]
	v_mov_b32_e32 v8, v45
	v_mov_b32_e32 v1, v44
	ds_write2_b32 v46, v45, v44 offset0:10 offset1:11
	ds_write_b32 v46, v10 offset:48
	s_and_saveexec_b64 s[14:15], s[2:3]
	s_xor_b64 s[2:3], exec, s[14:15]
; %bb.21:
                                        ; implicit-def: $vgpr96_vgpr97
                                        ; implicit-def: $vgpr74_vgpr75
                                        ; implicit-def: $vgpr98_vgpr99
                                        ; implicit-def: $vgpr78_vgpr79
                                        ; implicit-def: $vgpr100_vgpr101
                                        ; implicit-def: $vgpr76_vgpr77
                                        ; implicit-def: $vgpr102_vgpr103
                                        ; implicit-def: $vgpr72_vgpr73
                                        ; implicit-def: $vgpr56_vgpr57
                                        ; implicit-def: $vgpr0_vgpr1
                                        ; implicit-def: $vgpr104_vgpr105
                                        ; implicit-def: $vgpr70_vgpr71
                                        ; implicit-def: $vgpr14_vgpr15
                                        ; implicit-def: $vgpr16_vgpr17
                                        ; implicit-def: $vgpr18_vgpr19
                                        ; implicit-def: $vgpr20_vgpr21
                                        ; implicit-def: $vgpr22_vgpr23
                                        ; implicit-def: $vgpr24_vgpr25
                                        ; implicit-def: $vgpr8_vgpr9
; %bb.22:
	s_or_saveexec_b64 s[2:3], s[2:3]
	v_pk_add_f32 v[12:13], v[12:13], v[26:27]
	v_add_u32_e32 v26, 39, v4
	s_xor_b64 exec, exec, s[2:3]
	s_cbranch_execz .LBB0_24
; %bb.23:
	v_pk_mul_f32 v[40:41], v[96:97], s[12:13] op_sel:[1,0]
	v_mov_b32_e32 v8, v9
	v_pk_mul_f32 v[44:45], v[98:99], s[34:35] op_sel:[1,0]
	v_pk_add_f32 v[14:15], v[40:41], v[14:15] neg_lo:[0,1] neg_hi:[0,1]
	v_pk_mul_f32 v[50:51], v[100:101], s[30:31] op_sel:[1,0]
	v_pk_add_f32 v[14:15], v[8:9], v[14:15]
	v_pk_add_f32 v[16:17], v[44:45], v[16:17] neg_lo:[0,1] neg_hi:[0,1]
	v_pk_mul_f32 v[54:55], v[102:103], s[4:5] op_sel:[1,0]
	v_pk_add_f32 v[14:15], v[14:15], v[16:17]
	v_pk_add_f32 v[16:17], v[50:51], v[18:19] neg_lo:[0,1] neg_hi:[0,1]
	v_mov_b32_e32 v58, v57
	v_mov_b32_e32 v59, v57
	v_pk_mul_f32 v[56:57], v[56:57], s[24:25] op_sel:[1,0]
	v_pk_add_f32 v[14:15], v[14:15], v[16:17]
	v_pk_add_f32 v[16:17], v[54:55], v[20:21] neg_lo:[0,1] neg_hi:[0,1]
	v_pk_mul_f32 v[62:63], v[104:105], s[28:29] op_sel:[1,0]
	v_pk_add_f32 v[14:15], v[14:15], v[16:17]
	v_pk_add_f32 v[16:17], v[56:57], v[22:23] neg_lo:[0,1] neg_hi:[0,1]
	v_mov_b32_e32 v75, v74
	v_pk_add_f32 v[14:15], v[14:15], v[16:17]
	v_pk_add_f32 v[16:17], v[62:63], v[24:25] neg_lo:[0,1] neg_hi:[0,1]
	s_mov_b32 s4, 0x3df6dbef
	s_mov_b32 s15, 0xbf6f5d39
	;; [unrolled: 1-line block ×4, first 2 shown]
	v_mov_b32_e32 v38, v97
	v_mov_b32_e32 v39, v97
	v_mov_b32_e32 v79, v78
	v_pk_add_f32 v[14:15], v[14:15], v[16:17]
	s_mov_b32 s5, 0xbeb58ec6
	v_pk_mul_f32 v[16:17], v[74:75], s[14:15]
	s_mov_b32 s17, 0x3f29c268
	v_mov_b32_e32 v42, v99
	v_mov_b32_e32 v43, v99
	v_pk_fma_f32 v[18:19], v[38:39], s[4:5], v[16:17]
	s_mov_b32 s13, 0xbf3f9e67
	s_mov_b32 s12, 0xbf788fa5
	v_pk_mul_f32 v[20:21], v[78:79], s[16:17]
	v_mov_b32_e32 v77, v76
	v_pk_add_f32 v[18:19], v[8:9], v[18:19]
	v_pk_fma_f32 v[22:23], v[42:43], s[12:13], v[20:21]
	s_mov_b32 s21, 0x3eedf032
	s_mov_b32 s20, 0x3f6f5d39
	v_mov_b32_e32 v46, v101
	v_mov_b32_e32 v47, v101
	v_pk_add_f32 v[18:19], v[18:19], v[22:23]
	s_mov_b32 s19, 0x3f62ad3f
	s_mov_b32 s18, s5
	v_pk_mul_f32 v[22:23], v[76:77], s[20:21]
	v_mov_b32_e32 v73, v72
	v_pk_fma_f32 v[24:25], v[46:47], s[18:19], v[22:23]
	s_mov_b32 s24, s21
	s_mov_b32 s25, s14
	v_mov_b32_e32 v52, v103
	v_mov_b32_e32 v53, v103
	v_pk_add_f32 v[18:19], v[18:19], v[24:25]
	s_mov_b32 s22, s19
	s_mov_b32 s23, s4
	v_pk_mul_f32 v[24:25], v[72:73], s[24:25]
	s_mov_b32 s26, 0xbf52af12
	v_pk_fma_f32 v[16:17], v[38:39], s[4:5], v[16:17] neg_lo:[0,0,1] neg_hi:[0,0,1]
	v_mov_b32_e32 v1, v0
	v_pk_fma_f32 v[40:41], v[52:53], s[22:23], v[24:25]
	s_mov_b32 s27, 0x3e750f2a
	v_pk_add_f32 v[16:17], v[8:9], v[16:17]
	v_pk_fma_f32 v[20:21], v[42:43], s[12:13], v[20:21] neg_lo:[0,0,1] neg_hi:[0,0,1]
	v_pk_add_f32 v[18:19], v[18:19], v[40:41]
	s_mov_b32 s24, 0x3f116cb1
	s_mov_b32 s25, s12
	v_pk_mul_f32 v[40:41], v[0:1], s[26:27]
	v_pk_add_f32 v[16:17], v[16:17], v[20:21]
	v_pk_fma_f32 v[20:21], v[46:47], s[18:19], v[22:23] neg_lo:[0,0,1] neg_hi:[0,0,1]
	v_mov_b32_e32 v71, v70
	v_pk_fma_f32 v[44:45], v[58:59], s[24:25], v[40:41]
	s_mov_b32 s31, 0x3f52af12
	s_mov_b32 s30, 0xbf29c268
	v_pk_add_f32 v[16:17], v[16:17], v[20:21]
	v_pk_fma_f32 v[20:21], v[52:53], s[22:23], v[24:25] neg_lo:[0,0,1] neg_hi:[0,0,1]
	v_mov_b32_e32 v60, v105
	v_mov_b32_e32 v61, v105
	v_pk_add_f32 v[18:19], v[18:19], v[44:45]
	s_mov_b32 s28, s13
	s_mov_b32 s29, s24
	v_pk_mul_f32 v[44:45], v[70:71], s[30:31]
	v_pk_add_f32 v[16:17], v[16:17], v[20:21]
	v_pk_fma_f32 v[20:21], v[58:59], s[24:25], v[40:41] neg_lo:[0,0,1] neg_hi:[0,0,1]
	v_pk_fma_f32 v[50:51], v[60:61], s[28:29], v[44:45]
	v_pk_add_f32 v[16:17], v[16:17], v[20:21]
	v_pk_fma_f32 v[20:21], v[60:61], s[28:29], v[44:45] neg_lo:[0,0,1] neg_hi:[0,0,1]
	s_mov_b32 s28, s30
	s_mov_b32 s29, s16
	v_pk_add_f32 v[16:17], v[16:17], v[20:21]
	s_mov_b32 s22, s13
	s_mov_b32 s23, s12
	v_pk_mul_f32 v[20:21], v[74:75], s[28:29]
	s_mov_b32 s20, 0x3f7e222b
	v_pk_fma_f32 v[22:23], v[38:39], s[22:23], v[20:21]
	s_mov_b32 s18, s4
	v_pk_mul_f32 v[24:25], v[78:79], s[20:21]
	v_pk_add_f32 v[22:23], v[8:9], v[22:23]
	v_pk_fma_f32 v[40:41], v[42:43], s[18:19], v[24:25]
	s_mov_b32 s16, s26
	s_mov_b32 s17, s30
	v_pk_add_f32 v[22:23], v[22:23], v[40:41]
	s_mov_b32 s25, s13
	v_pk_mul_f32 v[40:41], v[76:77], s[16:17]
	s_mov_b32 s30, s27
	v_pk_fma_f32 v[44:45], v[46:47], s[24:25], v[40:41]
	v_pk_fma_f32 v[20:21], v[38:39], s[22:23], v[20:21] neg_lo:[0,0,1] neg_hi:[0,0,1]
	v_pk_add_f32 v[22:23], v[22:23], v[44:45]
	s_mov_b32 s13, s24
	v_pk_mul_f32 v[44:45], v[72:73], s[30:31]
	s_mov_b32 s14, s21
	v_pk_add_f32 v[8:9], v[8:9], v[20:21]
	v_pk_fma_f32 v[20:21], v[42:43], s[18:19], v[24:25] neg_lo:[0,0,1] neg_hi:[0,0,1]
	v_pk_add_f32 v[18:19], v[18:19], v[50:51]
	v_pk_fma_f32 v[50:51], v[52:53], s[12:13], v[44:45]
	s_mov_b32 s16, s19
	s_mov_b32 s17, s5
	v_pk_mul_f32 v[0:1], v[0:1], s[14:15]
	v_pk_add_f32 v[8:9], v[8:9], v[20:21]
	v_pk_fma_f32 v[20:21], v[46:47], s[24:25], v[40:41] neg_lo:[0,0,1] neg_hi:[0,0,1]
	v_pk_add_f32 v[22:23], v[22:23], v[50:51]
	v_pk_fma_f32 v[50:51], v[58:59], s[16:17], v[0:1]
	s_mov_b32 s26, s5
	s_mov_b32 s27, s4
	;; [unrolled: 1-line block ×4, first 2 shown]
	v_pk_add_f32 v[8:9], v[8:9], v[20:21]
	v_pk_fma_f32 v[20:21], v[52:53], s[12:13], v[44:45] neg_lo:[0,0,1] neg_hi:[0,0,1]
	v_pk_add_f32 v[22:23], v[22:23], v[50:51]
	v_pk_mul_f32 v[50:51], v[70:71], s[4:5]
	v_pk_add_f32 v[8:9], v[8:9], v[20:21]
	v_pk_fma_f32 v[0:1], v[58:59], s[16:17], v[0:1] neg_lo:[0,0,1] neg_hi:[0,0,1]
	v_pk_fma_f32 v[54:55], v[60:61], s[26:27], v[50:51]
	v_pk_add_f32 v[0:1], v[8:9], v[0:1]
	v_pk_fma_f32 v[8:9], v[60:61], s[26:27], v[50:51] neg_lo:[0,0,1] neg_hi:[0,0,1]
	v_pk_add_f32 v[22:23], v[22:23], v[54:55]
	v_pk_add_f32 v[0:1], v[0:1], v[8:9]
	v_mul_u32_u24_e32 v8, 52, v26
	v_add3_u32 v9, 0, v8, v32
	ds_write_b32 v9, v11
	ds_write2_b32 v9, v12, v13 offset0:1 offset1:2
	ds_write2_b32 v9, v18, v19 offset0:3 offset1:4
	;; [unrolled: 1-line block ×6, first 2 shown]
.LBB0_24:
	s_or_b64 exec, exec, s[2:3]
	v_add_u32_e32 v16, 0x400, v30
	v_add_u32_e32 v13, 0x200, v30
	s_waitcnt lgkmcnt(0)
	s_barrier
	ds_read2_b32 v[0:1], v30 offset0:117 offset1:182
	ds_read2_b32 v[14:15], v16 offset0:43 offset1:108
	;; [unrolled: 1-line block ×5, first 2 shown]
	ds_read_b32 v24, v28
	ds_read_b32 v21, v30 offset:1924
	s_and_saveexec_b64 s[2:3], vcc
	s_cbranch_execz .LBB0_26
; %bb.25:
	ds_read2_b32 v[10:11], v13 offset0:28 offset1:210
	ds_read_b32 v12, v30 offset:2080
.LBB0_26:
	s_or_b64 exec, exec, s[2:3]
	s_movk_i32 s2, 0x4f
	v_mul_lo_u16_sdwa v13, v4, s2 dst_sel:DWORD dst_unused:UNUSED_PAD src0_sel:BYTE_0 src1_sel:DWORD
	v_lshrrev_b16_e32 v46, 10, v13
	v_mul_lo_u16_sdwa v22, v26, s2 dst_sel:DWORD dst_unused:UNUSED_PAD src0_sel:BYTE_0 src1_sel:DWORD
	v_mul_lo_u16_e32 v13, 13, v46
	v_lshrrev_b16_e32 v66, 10, v22
	v_sub_u16_e32 v47, v4, v13
	v_mov_b32_e32 v13, 4
	v_mul_lo_u16_e32 v22, 13, v66
	v_lshlrev_b32_sdwa v20, v13, v47 dst_sel:DWORD dst_unused:UNUSED_PAD src0_sel:DWORD src1_sel:BYTE_0
	v_sub_u16_e32 v67, v26, v22
	v_lshlrev_b32_sdwa v22, v13, v67 dst_sel:DWORD dst_unused:UNUSED_PAD src0_sel:DWORD src1_sel:BYTE_0
	global_load_dwordx4 v[42:45], v20, s[8:9]
	global_load_dwordx4 v[50:53], v22, s[8:9]
	v_add_u16_e32 v20, 0x4e, v4
	v_mul_lo_u16_sdwa v22, v20, s2 dst_sel:DWORD dst_unused:UNUSED_PAD src0_sel:BYTE_0 src1_sel:DWORD
	v_lshrrev_b16_e32 v68, 10, v22
	v_mul_lo_u16_e32 v22, 13, v68
	v_sub_u16_e32 v69, v20, v22
	v_add_u16_e32 v22, 0x75, v4
	v_mul_lo_u16_sdwa v23, v22, s2 dst_sel:DWORD dst_unused:UNUSED_PAD src0_sel:BYTE_0 src1_sel:DWORD
	v_lshrrev_b16_e32 v70, 10, v23
	v_mul_lo_u16_e32 v23, 13, v70
	v_lshlrev_b32_sdwa v20, v13, v69 dst_sel:DWORD dst_unused:UNUSED_PAD src0_sel:DWORD src1_sel:BYTE_0
	v_sub_u16_e32 v71, v22, v23
	v_lshlrev_b32_sdwa v22, v13, v71 dst_sel:DWORD dst_unused:UNUSED_PAD src0_sel:DWORD src1_sel:BYTE_0
	global_load_dwordx4 v[54:57], v20, s[8:9]
	global_load_dwordx4 v[58:61], v22, s[8:9]
	v_add_u16_e32 v20, 0x9c, v4
	v_mul_lo_u16_sdwa v22, v20, s2 dst_sel:DWORD dst_unused:UNUSED_PAD src0_sel:BYTE_0 src1_sel:DWORD
	v_lshrrev_b16_e32 v25, 10, v22
	v_mul_lo_u16_e32 v22, 13, v25
	v_sub_u16_e32 v26, v20, v22
	v_lshlrev_b32_sdwa v13, v13, v26 dst_sel:DWORD dst_unused:UNUSED_PAD src0_sel:DWORD src1_sel:BYTE_0
	global_load_dwordx4 v[62:65], v13, s[8:9]
	s_movk_i32 s4, 0x9c
	s_waitcnt lgkmcnt(0)
	s_barrier
	s_waitcnt vmcnt(4)
	v_mul_f32_e32 v31, v1, v43
	v_mul_f32_e32 v37, v83, v43
	;; [unrolled: 1-line block ×4, first 2 shown]
	s_waitcnt vmcnt(3)
	v_mul_f32_e32 v43, v18, v51
	v_mul_f32_e32 v33, v90, v51
	;; [unrolled: 1-line block ×4, first 2 shown]
	v_fma_f32 v40, v83, v42, -v31
	v_fma_f32 v41, v87, v44, -v39
	v_fmac_f32_e32 v38, v15, v44
	v_fmac_f32_e32 v35, v16, v52
	v_fma_f32 v39, v90, v50, -v43
	s_waitcnt vmcnt(2)
	v_mul_f32_e32 v51, v19, v55
	v_mul_f32_e32 v53, v17, v57
	;; [unrolled: 1-line block ×3, first 2 shown]
	s_waitcnt vmcnt(1)
	v_mul_f32_e32 v57, v21, v61
	v_mul_f32_e32 v20, v36, v61
	;; [unrolled: 1-line block ×5, first 2 shown]
	s_waitcnt vmcnt(0)
	v_mul_f32_e32 v27, v49, v63
	v_mul_f32_e32 v61, v12, v65
	;; [unrolled: 1-line block ×4, first 2 shown]
	v_fma_f32 v15, v91, v54, -v51
	v_fma_f32 v16, v89, v56, -v53
	v_fmac_f32_e32 v27, v11, v62
	v_fma_f32 v11, v5, v64, -v61
	v_add_f32_e32 v5, v34, v40
	v_fmac_f32_e32 v22, v19, v54
	v_fmac_f32_e32 v23, v17, v56
	v_add_f32_e32 v43, v5, v41
	v_add_f32_e32 v5, v15, v16
	v_fmac_f32_e32 v37, v1, v42
	v_fma_f32 v1, v86, v58, -v55
	v_add_f32_e32 v42, v85, v15
	v_fmac_f32_e32 v85, -0.5, v5
	v_sub_f32_e32 v5, v22, v23
	v_fmac_f32_e32 v33, v18, v50
	v_fma_f32 v18, v88, v52, -v45
	v_fmac_f32_e32 v13, v14, v58
	v_fma_f32 v14, v36, v60, -v57
	v_fmamk_f32 v45, v5, 0x3f5db3d7, v85
	v_fmac_f32_e32 v85, 0xbf5db3d7, v5
	v_add_f32_e32 v5, v82, v1
	v_fmac_f32_e32 v20, v21, v60
	v_fma_f32 v31, v49, v62, -v59
	v_add_f32_e32 v49, v5, v14
	v_add_f32_e32 v5, v1, v14
	v_fmac_f32_e32 v29, v12, v64
	v_add_f32_e32 v12, v40, v41
	v_add_f32_e32 v19, v84, v39
	;; [unrolled: 1-line block ×3, first 2 shown]
	v_fmac_f32_e32 v82, -0.5, v5
	v_sub_f32_e32 v5, v13, v20
	v_sub_f32_e32 v17, v37, v38
	;; [unrolled: 1-line block ×3, first 2 shown]
	v_fmac_f32_e32 v34, -0.5, v12
	v_add_f32_e32 v12, v19, v18
	v_fma_f32 v19, -0.5, v21, v84
	v_fmamk_f32 v50, v5, 0x3f5db3d7, v82
	v_fmac_f32_e32 v82, 0xbf5db3d7, v5
	v_mov_b32_e32 v5, 2
	v_fmamk_f32 v21, v17, 0x3f5db3d7, v34
	v_fmac_f32_e32 v34, 0xbf5db3d7, v17
	v_fmamk_f32 v17, v36, 0x3f5db3d7, v19
	v_fmac_f32_e32 v19, 0xbf5db3d7, v36
	v_add_f32_e32 v44, v42, v16
	v_mad_u32_u24 v36, v46, s4, 0
	v_lshlrev_b32_sdwa v42, v5, v47 dst_sel:DWORD dst_unused:UNUSED_PAD src0_sel:DWORD src1_sel:BYTE_0
	v_add3_u32 v36, v36, v42, v32
	ds_write2_b32 v36, v43, v21 offset1:13
	ds_write_b32 v36, v34 offset:104
	v_mad_u32_u24 v21, v66, s4, 0
	v_lshlrev_b32_sdwa v34, v5, v67 dst_sel:DWORD dst_unused:UNUSED_PAD src0_sel:DWORD src1_sel:BYTE_0
	v_add3_u32 v34, v21, v34, v32
	ds_write2_b32 v34, v12, v17 offset1:13
	ds_write_b32 v34, v19 offset:104
	v_mad_u32_u24 v12, v68, s4, 0
	v_lshlrev_b32_sdwa v17, v5, v69 dst_sel:DWORD dst_unused:UNUSED_PAD src0_sel:DWORD src1_sel:BYTE_0
	v_add3_u32 v42, v12, v17, v32
	v_mad_u32_u24 v12, v70, s4, 0
	v_lshlrev_b32_sdwa v17, v5, v71 dst_sel:DWORD dst_unused:UNUSED_PAD src0_sel:DWORD src1_sel:BYTE_0
	v_add3_u32 v43, v12, v17, v32
	ds_write2_b32 v42, v44, v45 offset1:13
	ds_write_b32 v42, v85 offset:104
	ds_write2_b32 v43, v49, v50 offset1:13
	ds_write_b32 v43, v82 offset:104
	s_and_saveexec_b64 s[2:3], vcc
	s_cbranch_execz .LBB0_28
; %bb.27:
	v_add_f32_e32 v12, v31, v11
	v_fma_f32 v12, -0.5, v12, v48
	v_sub_f32_e32 v17, v27, v29
	v_fmamk_f32 v19, v17, 0xbf5db3d7, v12
	v_fmac_f32_e32 v12, 0x3f5db3d7, v17
	v_add_f32_e32 v17, v48, v31
	v_mad_u32_u24 v21, v25, s4, 0
	v_lshlrev_b32_sdwa v5, v5, v26 dst_sel:DWORD dst_unused:UNUSED_PAD src0_sel:DWORD src1_sel:BYTE_0
	v_add_f32_e32 v17, v17, v11
	v_add3_u32 v5, v21, v5, v32
	ds_write2_b32 v5, v17, v12 offset1:13
	ds_write_b32 v5, v19 offset:104
.LBB0_28:
	s_or_b64 exec, exec, s[2:3]
	v_add_f32_e32 v5, v24, v37
	v_add_f32_e32 v44, v5, v38
	;; [unrolled: 1-line block ×3, first 2 shown]
	v_fmac_f32_e32 v24, -0.5, v5
	v_sub_f32_e32 v5, v40, v41
	v_fmamk_f32 v37, v5, 0xbf5db3d7, v24
	v_fmac_f32_e32 v24, 0x3f5db3d7, v5
	v_add_f32_e32 v5, v8, v33
	v_add_f32_e32 v38, v5, v35
	v_add_f32_e32 v5, v33, v35
	v_fma_f32 v33, -0.5, v5, v8
	v_sub_f32_e32 v5, v39, v18
	v_fmamk_f32 v35, v5, 0xbf5db3d7, v33
	v_fmac_f32_e32 v33, 0x3f5db3d7, v5
	v_add_f32_e32 v5, v9, v22
	v_add_f32_e32 v39, v5, v23
	;; [unrolled: 1-line block ×3, first 2 shown]
	v_fmac_f32_e32 v9, -0.5, v5
	v_sub_f32_e32 v5, v15, v16
	v_fmamk_f32 v40, v5, 0xbf5db3d7, v9
	v_fmac_f32_e32 v9, 0x3f5db3d7, v5
	v_add_f32_e32 v5, v0, v13
	v_add_f32_e32 v41, v5, v20
	;; [unrolled: 1-line block ×3, first 2 shown]
	v_fmac_f32_e32 v0, -0.5, v5
	v_sub_f32_e32 v1, v1, v14
	v_add_u32_e32 v5, 0x400, v30
	v_fmamk_f32 v45, v1, 0xbf5db3d7, v0
	v_fmac_f32_e32 v0, 0x3f5db3d7, v1
	s_waitcnt lgkmcnt(0)
	s_barrier
	ds_read2_b32 v[12:13], v30 offset0:39 offset1:78
	ds_read2_b32 v[22:23], v30 offset0:117 offset1:156
	ds_read2_b32 v[18:19], v30 offset0:195 offset1:234
	ds_read2_b32 v[20:21], v5 offset0:17 offset1:56
	ds_read2_b32 v[16:17], v5 offset0:95 offset1:134
	ds_read2_b32 v[14:15], v5 offset0:173 offset1:212
	ds_read_b32 v1, v28
	ds_read_b32 v8, v30 offset:2028
	s_waitcnt lgkmcnt(0)
	s_barrier
	ds_write2_b32 v36, v44, v37 offset1:13
	ds_write_b32 v36, v24 offset:104
	ds_write2_b32 v34, v38, v35 offset1:13
	ds_write_b32 v34, v33 offset:104
	;; [unrolled: 2-line block ×4, first 2 shown]
	s_and_saveexec_b64 s[2:3], vcc
	s_cbranch_execz .LBB0_30
; %bb.29:
	v_add_f32_e32 v9, v27, v29
	v_add_f32_e32 v0, v10, v27
	v_fmac_f32_e32 v10, -0.5, v9
	v_sub_f32_e32 v9, v31, v11
	v_mov_b32_e32 v24, 2
	v_fmamk_f32 v11, v9, 0xbf5db3d7, v10
	v_fmamk_f32 v9, v9, 0x3f5db3d7, v10
	v_mad_u32_u24 v10, v25, s4, 0
	v_lshlrev_b32_sdwa v24, v24, v26 dst_sel:DWORD dst_unused:UNUSED_PAD src0_sel:DWORD src1_sel:BYTE_0
	v_add_f32_e32 v0, v0, v29
	v_add3_u32 v10, v10, v24, v32
	ds_write2_b32 v10, v0, v11 offset1:13
	ds_write_b32 v10, v9 offset:104
.LBB0_30:
	s_or_b64 exec, exec, s[2:3]
	v_mul_u32_u24_e32 v0, 6, v4
	v_lshlrev_b32_e32 v0, 3, v0
	s_waitcnt lgkmcnt(0)
	s_barrier
	global_load_dwordx4 v[24:27], v0, s[8:9] offset:208
	global_load_dwordx4 v[32:35], v0, s[8:9] offset:224
	;; [unrolled: 1-line block ×3, first 2 shown]
	ds_read2_b32 v[10:11], v30 offset0:39 offset1:78
	ds_read2_b32 v[40:41], v30 offset0:117 offset1:156
	;; [unrolled: 1-line block ×6, first 2 shown]
	ds_read_b32 v0, v28
	ds_read_b32 v9, v30 offset:2028
	s_mov_b32 s2, 0x3f5ff5aa
	s_mov_b32 s3, 0x3f3bfb3b
	;; [unrolled: 1-line block ×4, first 2 shown]
	s_waitcnt lgkmcnt(0)
	s_barrier
	s_waitcnt vmcnt(2)
	v_mul_f32_e32 v29, v11, v25
	v_mul_f32_e32 v31, v13, v25
	;; [unrolled: 1-line block ×4, first 2 shown]
	s_waitcnt vmcnt(0)
	v_mul_f32_e32 v56, v47, v37
	v_mul_f32_e32 v57, v17, v37
	;; [unrolled: 1-line block ×14, first 2 shown]
	v_fma_f32 v13, v13, v24, -v29
	v_fmac_f32_e32 v31, v11, v24
	v_fma_f32 v11, v23, v26, -v50
	v_fmac_f32_e32 v51, v41, v26
	v_fma_f32 v17, v17, v36, -v56
	v_fmac_f32_e32 v57, v47, v36
	v_fma_f32 v15, v15, v38, -v58
	v_fmac_f32_e32 v59, v49, v38
	v_mul_f32_e32 v62, v44, v33
	v_mul_f32_e32 v33, v20, v33
	;; [unrolled: 1-line block ×4, first 2 shown]
	v_fma_f32 v19, v19, v32, -v52
	v_fmac_f32_e32 v53, v43, v32
	v_fma_f32 v21, v21, v34, -v54
	v_fmac_f32_e32 v55, v45, v34
	;; [unrolled: 2-line block ×4, first 2 shown]
	v_fmac_f32_e32 v39, v9, v38
	v_add_f32_e32 v9, v13, v15
	v_add_f32_e32 v23, v31, v59
	;; [unrolled: 1-line block ×4, first 2 shown]
	v_mul_f32_e32 v64, v48, v37
	v_mul_f32_e32 v37, v14, v37
	v_fma_f32 v20, v20, v32, -v62
	v_fmac_f32_e32 v33, v44, v32
	v_fma_f32 v16, v16, v34, -v63
	v_fmac_f32_e32 v35, v46, v34
	v_sub_f32_e32 v13, v13, v15
	v_sub_f32_e32 v15, v31, v59
	;; [unrolled: 1-line block ×4, first 2 shown]
	v_add_f32_e32 v29, v19, v21
	v_add_f32_e32 v31, v53, v55
	v_sub_f32_e32 v19, v21, v19
	v_sub_f32_e32 v21, v55, v53
	v_add_f32_e32 v32, v24, v9
	v_add_f32_e32 v34, v26, v23
	v_fma_f32 v14, v14, v36, -v64
	v_fmac_f32_e32 v37, v48, v36
	v_fma_f32 v8, v8, v38, -v65
	v_sub_f32_e32 v36, v24, v9
	v_sub_f32_e32 v38, v26, v23
	;; [unrolled: 1-line block ×6, first 2 shown]
	v_add_f32_e32 v40, v19, v11
	v_add_f32_e32 v41, v21, v17
	v_sub_f32_e32 v42, v19, v11
	v_sub_f32_e32 v43, v21, v17
	;; [unrolled: 1-line block ×4, first 2 shown]
	v_add_f32_e32 v29, v29, v32
	v_add_f32_e32 v31, v31, v34
	v_sub_f32_e32 v19, v13, v19
	v_sub_f32_e32 v21, v15, v21
	v_add_f32_e32 v13, v40, v13
	v_add_f32_e32 v15, v41, v15
	;; [unrolled: 1-line block ×4, first 2 shown]
	v_mul_f32_e32 v0, 0x3f4a47b2, v9
	v_mul_f32_e32 v9, 0x3f4a47b2, v23
	;; [unrolled: 1-line block ×8, first 2 shown]
	v_fmamk_f32 v29, v29, 0xbf955555, v1
	v_fmamk_f32 v31, v31, 0xbf955555, v32
	v_fma_f32 v23, v36, s3, -v23
	v_fma_f32 v34, v38, s3, -v34
	;; [unrolled: 1-line block ×3, first 2 shown]
	v_fmac_f32_e32 v0, 0x3d64c772, v24
	v_fma_f32 v24, v38, s4, -v9
	v_fma_f32 v11, v11, s2, -v40
	v_fmac_f32_e32 v40, 0x3eae86e6, v19
	v_fma_f32 v17, v17, s2, -v41
	v_fmac_f32_e32 v41, 0x3eae86e6, v21
	v_fma_f32 v19, v19, s5, -v42
	v_fma_f32 v21, v21, s5, -v43
	v_fmac_f32_e32 v9, 0x3d64c772, v26
	v_add_f32_e32 v0, v0, v29
	v_add_f32_e32 v23, v23, v29
	;; [unrolled: 1-line block ×5, first 2 shown]
	v_fmac_f32_e32 v11, 0x3ee1c552, v13
	v_fmac_f32_e32 v17, 0x3ee1c552, v15
	;; [unrolled: 1-line block ×5, first 2 shown]
	v_add_f32_e32 v15, v21, v29
	v_sub_f32_e32 v34, v24, v19
	v_sub_f32_e32 v36, v23, v17
	v_add_f32_e32 v38, v11, v26
	v_add_f32_e32 v17, v17, v23
	v_sub_f32_e32 v26, v26, v11
	v_sub_f32_e32 v11, v29, v21
	v_add_f32_e32 v19, v19, v24
	v_add_f32_e32 v21, v22, v8
	v_add_f32_e32 v23, v25, v39
	v_sub_f32_e32 v8, v22, v8
	v_sub_f32_e32 v22, v25, v39
	v_add_f32_e32 v24, v18, v14
	v_add_f32_e32 v25, v27, v37
	;; [unrolled: 1-line block ×3, first 2 shown]
	v_fmac_f32_e32 v40, 0x3ee1c552, v13
	v_sub_f32_e32 v14, v18, v14
	v_sub_f32_e32 v18, v27, v37
	v_add_f32_e32 v27, v20, v16
	v_add_f32_e32 v29, v33, v35
	v_sub_f32_e32 v16, v16, v20
	v_sub_f32_e32 v20, v35, v33
	v_add_f32_e32 v33, v24, v21
	v_add_f32_e32 v35, v25, v23
	;; [unrolled: 1-line block ×3, first 2 shown]
	v_sub_f32_e32 v31, v9, v40
	v_sub_f32_e32 v0, v0, v41
	v_add_f32_e32 v9, v40, v9
	v_sub_f32_e32 v37, v24, v21
	v_sub_f32_e32 v39, v25, v23
	v_sub_f32_e32 v21, v21, v27
	v_sub_f32_e32 v23, v23, v29
	v_sub_f32_e32 v24, v27, v24
	v_sub_f32_e32 v25, v29, v25
	v_add_f32_e32 v40, v16, v14
	v_add_f32_e32 v41, v20, v18
	v_sub_f32_e32 v42, v16, v14
	v_sub_f32_e32 v43, v20, v18
	;; [unrolled: 1-line block ×3, first 2 shown]
	v_add_f32_e32 v27, v27, v33
	v_add_f32_e32 v29, v29, v35
	v_sub_f32_e32 v16, v8, v16
	v_sub_f32_e32 v20, v22, v20
	;; [unrolled: 1-line block ×3, first 2 shown]
	v_add_f32_e32 v8, v40, v8
	v_add_f32_e32 v22, v41, v22
	;; [unrolled: 1-line block ×4, first 2 shown]
	v_mul_f32_e32 v10, 0x3f4a47b2, v21
	v_mul_f32_e32 v21, 0x3f4a47b2, v23
	;; [unrolled: 1-line block ×8, first 2 shown]
	v_fmamk_f32 v27, v27, 0xbf955555, v12
	v_fmamk_f32 v29, v29, 0xbf955555, v33
	v_fma_f32 v23, v37, s3, -v23
	v_fma_f32 v35, v39, s3, -v35
	;; [unrolled: 1-line block ×3, first 2 shown]
	v_fmac_f32_e32 v10, 0x3d64c772, v24
	v_fma_f32 v14, v14, s2, -v40
	v_fma_f32 v18, v18, s2, -v41
	v_fmac_f32_e32 v41, 0x3eae86e6, v20
	v_fma_f32 v20, v20, s5, -v43
	v_fma_f32 v24, v39, s4, -v21
	v_fmac_f32_e32 v21, 0x3d64c772, v25
	v_fmac_f32_e32 v40, 0x3eae86e6, v16
	v_fma_f32 v16, v16, s5, -v42
	v_add_f32_e32 v10, v10, v27
	v_add_f32_e32 v23, v23, v27
	;; [unrolled: 1-line block ×4, first 2 shown]
	v_fmac_f32_e32 v41, 0x3ee1c552, v22
	v_fmac_f32_e32 v14, 0x3ee1c552, v8
	;; [unrolled: 1-line block ×3, first 2 shown]
	v_add_f32_e32 v24, v24, v29
	v_fmac_f32_e32 v40, 0x3ee1c552, v8
	v_fmac_f32_e32 v18, 0x3ee1c552, v22
	;; [unrolled: 1-line block ×3, first 2 shown]
	v_add_f32_e32 v8, v41, v10
	v_add_f32_e32 v22, v20, v27
	;; [unrolled: 1-line block ×3, first 2 shown]
	v_sub_f32_e32 v25, v25, v14
	v_sub_f32_e32 v14, v27, v20
	;; [unrolled: 1-line block ×3, first 2 shown]
	v_add_u32_e32 v27, 0x200, v30
	v_sub_f32_e32 v35, v24, v16
	v_sub_f32_e32 v37, v23, v18
	v_add_f32_e32 v18, v18, v23
	v_add_f32_e32 v20, v16, v24
	ds_write2_b32 v30, v1, v13 offset1:39
	ds_write2_b32 v30, v15, v36 offset0:78 offset1:117
	ds_write2_b32 v30, v17, v11 offset0:156 offset1:195
	;; [unrolled: 1-line block ×6, first 2 shown]
	s_waitcnt lgkmcnt(0)
	s_barrier
	ds_read2_b32 v[22:23], v5 offset0:17 offset1:56
	ds_read2_b32 v[16:17], v30 offset0:39 offset1:78
	;; [unrolled: 1-line block ×6, first 2 shown]
	ds_read_b32 v24, v28
	ds_read_b32 v8, v30 offset:2028
	v_add_f32_e32 v21, v21, v29
	v_sub_f32_e32 v29, v21, v40
	v_add_f32_e32 v21, v40, v21
	s_waitcnt lgkmcnt(0)
	s_barrier
	ds_write2_b32 v30, v32, v31 offset1:39
	ds_write2_b32 v30, v34, v38 offset0:78 offset1:117
	ds_write2_b32 v30, v26, v19 offset0:156 offset1:195
	;; [unrolled: 1-line block ×6, first 2 shown]
	s_waitcnt lgkmcnt(0)
	s_barrier
	s_and_saveexec_b64 s[2:3], s[0:1]
	s_cbranch_execz .LBB0_32
; %bb.31:
	v_mov_b32_e32 v5, 0
	v_lshl_add_u64 v[18:19], v[4:5], 3, s[8:9]
	global_load_dwordx2 v[32:33], v[18:19], off offset:2080
	global_load_dwordx2 v[34:35], v[18:19], off offset:2392
	;; [unrolled: 1-line block ×3, first 2 shown]
	v_add_u32_e32 v29, 0x400, v30
	v_mul_lo_u32 v9, s11, v6
	v_mul_lo_u32 v21, s10, v7
	v_mad_u64_u32 v[38:39], s[0:1], s10, v6, 0
	ds_read2_b32 v[6:7], v30 offset0:195 offset1:234
	ds_read2_b32 v[40:41], v30 offset0:117 offset1:156
	;; [unrolled: 1-line block ×3, first 2 shown]
	ds_read_b32 v20, v30 offset:2028
	ds_read_b32 v25, v28
	ds_read2_b32 v[26:27], v29 offset0:173 offset1:212
	ds_read2_b32 v[46:47], v29 offset0:95 offset1:134
	;; [unrolled: 1-line block ×3, first 2 shown]
	global_load_dwordx2 v[56:57], v[18:19], off offset:3016
	s_mov_b32 s1, 0xe01e01e1
	v_add_u32_e32 v31, 39, v4
	v_mov_b32_e32 v44, v16
	v_add3_u32 v39, v39, v21, v9
	v_mul_hi_u32 v16, v31, s1
	v_mul_hi_u32 v9, v4, s1
	v_lshl_add_u64 v[38:39], v[38:39], 3, s[6:7]
	v_sub_u32_e32 v45, v31, v16
	v_add_u32_e32 v50, 0x4e, v4
	v_sub_u32_e32 v29, v4, v9
	v_lshl_add_u64 v[2:3], v[2:3], 3, v[38:39]
	v_lshrrev_b32_e32 v38, 1, v45
	v_mul_hi_u32 v21, v50, s1
	v_lshrrev_b32_e32 v29, 1, v29
	v_add_u32_e32 v16, v38, v16
	v_sub_u32_e32 v52, v50, v21
	v_add_u32_e32 v9, v29, v9
	v_lshrrev_b32_e32 v29, 8, v16
	v_lshrrev_b32_e32 v39, 1, v52
	v_mul_u32_u24_e32 v38, 0x111, v29
	v_add_u32_e32 v21, v39, v21
	v_sub_u32_e32 v31, v31, v38
	global_load_dwordx2 v[38:39], v[18:19], off offset:3328
	v_lshrrev_b32_e32 v21, 8, v21
	s_waitcnt lgkmcnt(5)
	v_mov_b32_e32 v45, v42
	v_mul_u32_u24_e32 v42, 0x111, v21
	s_movk_i32 s0, 0x222
	v_sub_u32_e32 v42, v50, v42
	v_mad_u32_u24 v58, v21, s0, v42
	v_mov_b32_e32 v53, v5
	v_mov_b32_e32 v59, v5
	v_mov_b32_e32 v61, v5
	s_waitcnt lgkmcnt(0)
	v_mov_b32_e32 v16, v49
	v_mad_u32_u24 v52, v29, s0, v31
	v_add_u32_e32 v60, 0x111, v58
	v_mov_b32_e32 v28, v23
	v_mov_b32_e32 v30, v23
	v_lshl_add_u64 v[62:63], v[52:53], 3, v[2:3]
	v_add_u32_e32 v54, 0x111, v52
	v_lshl_add_u64 v[52:53], v[58:59], 3, v[2:3]
	v_lshl_add_u64 v[58:59], v[60:61], 3, v[2:3]
	v_lshrrev_b32_e32 v9, 8, v9
	v_mul_u32_u24_e32 v9, 0x111, v9
	v_sub_u32_e32 v9, v4, v9
	v_mov_b32_e32 v51, v5
	v_lshlrev_b32_e32 v50, 3, v9
	v_lshl_add_u64 v[50:51], v[2:3], 0, v[50:51]
	v_mov_b32_e32 v42, v17
	v_mov_b32_e32 v55, v5
	v_lshl_add_u64 v[54:55], v[54:55], 3, v[2:3]
	v_add_u32_e32 v9, 0x75, v4
	s_waitcnt vmcnt(4)
	v_pk_mul_f32 v[48:49], v[48:49], v[32:33] op_sel:[0,1] op_sel_hi:[0,0]
	s_waitcnt vmcnt(3)
	v_pk_mul_f32 v[60:61], v[16:17], v[34:35] op_sel:[0,1] op_sel_hi:[0,0]
	v_pk_fma_f32 v[28:29], v[28:29], v[34:35], v[60:61] neg_lo:[0,0,1] neg_hi:[0,0,1]
	v_pk_fma_f32 v[30:31], v[30:31], v[34:35], v[60:61] op_sel_hi:[0,1,1]
	v_mov_b32_e32 v29, v31
	global_load_dwordx2 v[30:31], v[18:19], off offset:3640
	s_waitcnt vmcnt(3)
	v_pk_mul_f32 v[64:65], v[46:47], v[36:37] op_sel:[0,1] op_sel_hi:[0,0]
	v_pk_fma_f32 v[66:67], v[22:23], v[32:33], v[48:49] neg_lo:[0,0,1] neg_hi:[0,0,1]
	v_pk_fma_f32 v[22:23], v[22:23], v[32:33], v[48:49] op_sel_hi:[0,1,1]
	v_pk_fma_f32 v[32:33], v[14:15], v[36:37], v[64:65] neg_lo:[0,0,1] neg_hi:[0,0,1]
	v_pk_fma_f32 v[34:35], v[14:15], v[36:37], v[64:65] op_sel_hi:[0,1,1]
	v_mov_b32_e32 v67, v23
	v_pk_add_f32 v[22:23], v[24:25], v[66:67] neg_lo:[0,1] neg_hi:[0,1]
	v_pk_add_f32 v[28:29], v[44:45], v[28:29] neg_lo:[0,1] neg_hi:[0,1]
	v_mov_b32_e32 v33, v35
	v_pk_fma_f32 v[24:25], v[24:25], 2.0, v[22:23] op_sel_hi:[1,0,1] neg_lo:[0,0,1] neg_hi:[0,0,1]
	global_store_dwordx2 v[50:51], v[22:23], off offset:2184
	v_pk_fma_f32 v[22:23], v[44:45], 2.0, v[28:29] op_sel_hi:[1,0,1] neg_lo:[0,0,1] neg_hi:[0,0,1]
	v_pk_add_f32 v[16:17], v[42:43], v[32:33] neg_lo:[0,1] neg_hi:[0,1]
	global_store_dwordx2 v[50:51], v[24:25], off
	global_store_dwordx2 v[62:63], v[22:23], off
	;; [unrolled: 1-line block ×3, first 2 shown]
	v_pk_fma_f32 v[22:23], v[42:43], 2.0, v[16:17] op_sel_hi:[1,0,1] neg_lo:[0,0,1] neg_hi:[0,0,1]
	global_store_dwordx2 v[52:53], v[22:23], off
	global_store_dwordx2 v[58:59], v[16:17], off
	global_load_dwordx2 v[18:19], v[18:19], off offset:3952
	v_mul_hi_u32 v14, v9, s1
	v_sub_u32_e32 v16, v9, v14
	v_lshrrev_b32_e32 v16, 1, v16
	v_add_u32_e32 v14, v16, v14
	v_lshrrev_b32_e32 v14, 8, v14
	v_mul_u32_u24_e32 v16, 0x111, v14
	v_sub_u32_e32 v9, v9, v16
	v_mov_b32_e32 v28, v47
	v_mad_u32_u24 v16, v14, s0, v9
	v_mov_b32_e32 v14, v15
	v_mov_b32_e32 v24, v15
	s_waitcnt vmcnt(9)
	v_pk_mul_f32 v[28:29], v[28:29], v[56:57] op_sel:[0,1] op_sel_hi:[0,0]
	v_pk_fma_f32 v[14:15], v[14:15], v[56:57], v[28:29] neg_lo:[0,0,1] neg_hi:[0,0,1]
	v_pk_fma_f32 v[24:25], v[24:25], v[56:57], v[28:29] op_sel_hi:[0,1,1]
	v_mov_b32_e32 v15, v25
	v_mov_b32_e32 v24, v12
	;; [unrolled: 1-line block ×4, first 2 shown]
	v_pk_add_f32 v[14:15], v[24:25], v[14:15] neg_lo:[0,1] neg_hi:[0,1]
	v_add_u32_e32 v9, 0x9c, v4
	v_lshl_add_u64 v[22:23], v[16:17], 3, v[2:3]
	v_add_u32_e32 v16, 0x111, v16
	v_pk_fma_f32 v[24:25], v[24:25], 2.0, v[14:15] op_sel_hi:[1,0,1] neg_lo:[0,0,1] neg_hi:[0,0,1]
	v_mul_hi_u32 v12, v9, s1
	v_lshl_add_u64 v[16:17], v[16:17], 3, v[2:3]
	global_store_dwordx2 v[22:23], v[24:25], off
	global_store_dwordx2 v[16:17], v[14:15], off
	v_sub_u32_e32 v14, v9, v12
	v_lshrrev_b32_e32 v14, 1, v14
	v_add_u32_e32 v12, v14, v12
	v_lshrrev_b32_e32 v12, 8, v12
	s_waitcnt vmcnt(10)
	v_pk_mul_f32 v[22:23], v[26:27], v[38:39] op_sel:[0,1] op_sel_hi:[0,0]
	v_mul_u32_u24_e32 v14, 0x111, v12
	v_pk_fma_f32 v[24:25], v[10:11], v[38:39], v[22:23] neg_lo:[0,0,1] neg_hi:[0,0,1]
	v_pk_fma_f32 v[22:23], v[10:11], v[38:39], v[22:23] op_sel_hi:[0,1,1]
	v_sub_u32_e32 v9, v9, v14
	v_mov_b32_e32 v25, v23
	v_mov_b32_e32 v40, v13
	v_mad_u32_u24 v14, v12, s0, v9
	v_mov_b32_e32 v15, v5
	v_pk_add_f32 v[12:13], v[40:41], v[24:25] neg_lo:[0,1] neg_hi:[0,1]
	v_add_u32_e32 v9, 0xc3, v4
	v_lshl_add_u64 v[16:17], v[14:15], 3, v[2:3]
	v_add_u32_e32 v14, 0x111, v14
	v_pk_fma_f32 v[22:23], v[40:41], 2.0, v[12:13] op_sel_hi:[1,0,1] neg_lo:[0,0,1] neg_hi:[0,0,1]
	v_mul_hi_u32 v10, v9, s1
	v_lshl_add_u64 v[14:15], v[14:15], 3, v[2:3]
	global_store_dwordx2 v[16:17], v[22:23], off
	global_store_dwordx2 v[14:15], v[12:13], off
	v_sub_u32_e32 v12, v9, v10
	v_lshrrev_b32_e32 v12, 1, v12
	v_add_u32_e32 v10, v12, v10
	v_lshrrev_b32_e32 v10, 8, v10
	v_mov_b32_e32 v22, v27
	v_mul_u32_u24_e32 v12, 0x111, v10
	v_mov_b32_e32 v16, v11
	v_sub_u32_e32 v9, v9, v12
	v_mad_u32_u24 v12, v10, s0, v9
	v_mov_b32_e32 v10, v11
	v_mov_b32_e32 v13, v5
	v_lshl_add_u64 v[14:15], v[12:13], 3, v[2:3]
	v_add_u32_e32 v12, 0x111, v12
	v_lshl_add_u64 v[12:13], v[12:13], 3, v[2:3]
	s_waitcnt vmcnt(11)
	v_pk_mul_f32 v[22:23], v[22:23], v[30:31] op_sel:[0,1] op_sel_hi:[0,0]
	v_pk_fma_f32 v[16:17], v[16:17], v[30:31], v[22:23] op_sel_hi:[0,1,1]
	v_mov_b32_e32 v16, v0
	v_add_u32_e32 v0, 0xea, v4
	v_pk_fma_f32 v[10:11], v[10:11], v[30:31], v[22:23] neg_lo:[0,0,1] neg_hi:[0,0,1]
	v_mul_hi_u32 v4, v0, s1
	v_mov_b32_e32 v11, v17
	v_mov_b32_e32 v17, v6
	v_sub_u32_e32 v6, v0, v4
	v_lshrrev_b32_e32 v6, 1, v6
	v_add_u32_e32 v4, v6, v4
	v_lshrrev_b32_e32 v4, 8, v4
	v_mul_u32_u24_e32 v6, 0x111, v4
	v_pk_add_f32 v[10:11], v[16:17], v[10:11] neg_lo:[0,1] neg_hi:[0,1]
	v_sub_u32_e32 v0, v0, v6
	v_pk_fma_f32 v[16:17], v[16:17], 2.0, v[10:11] op_sel_hi:[1,0,1] neg_lo:[0,0,1] neg_hi:[0,0,1]
	v_mad_u32_u24 v4, v4, s0, v0
	global_store_dwordx2 v[14:15], v[16:17], off
	global_store_dwordx2 v[12:13], v[10:11], off
	v_lshl_add_u64 v[10:11], v[4:5], 3, v[2:3]
	v_add_u32_e32 v4, 0x111, v4
	v_lshl_add_u64 v[2:3], v[4:5], 3, v[2:3]
	s_waitcnt vmcnt(6)
	v_pk_mul_f32 v[4:5], v[20:21], v[18:19] op_sel:[0,1] op_sel_hi:[0,0]
	v_pk_fma_f32 v[12:13], v[8:9], v[18:19], v[4:5] neg_lo:[0,0,1] neg_hi:[0,0,1]
	v_pk_fma_f32 v[4:5], v[8:9], v[18:19], v[4:5] op_sel_hi:[0,1,1]
	v_mov_b32_e32 v13, v5
	v_mov_b32_e32 v6, v1
	v_pk_add_f32 v[0:1], v[6:7], v[12:13] neg_lo:[0,1] neg_hi:[0,1]
	s_nop 0
	v_pk_fma_f32 v[4:5], v[6:7], 2.0, v[0:1] op_sel_hi:[1,0,1] neg_lo:[0,0,1] neg_hi:[0,0,1]
	global_store_dwordx2 v[10:11], v[4:5], off
	global_store_dwordx2 v[2:3], v[0:1], off
.LBB0_32:
	s_endpgm
	.section	.rodata,"a",@progbits
	.p2align	6, 0x0
	.amdhsa_kernel fft_rtc_fwd_len546_factors_13_3_7_2_wgs_117_tpt_39_halfLds_sp_op_CI_CI_unitstride_sbrr_dirReg
		.amdhsa_group_segment_fixed_size 0
		.amdhsa_private_segment_fixed_size 0
		.amdhsa_kernarg_size 104
		.amdhsa_user_sgpr_count 2
		.amdhsa_user_sgpr_dispatch_ptr 0
		.amdhsa_user_sgpr_queue_ptr 0
		.amdhsa_user_sgpr_kernarg_segment_ptr 1
		.amdhsa_user_sgpr_dispatch_id 0
		.amdhsa_user_sgpr_kernarg_preload_length 0
		.amdhsa_user_sgpr_kernarg_preload_offset 0
		.amdhsa_user_sgpr_private_segment_size 0
		.amdhsa_uses_dynamic_stack 0
		.amdhsa_enable_private_segment 0
		.amdhsa_system_sgpr_workgroup_id_x 1
		.amdhsa_system_sgpr_workgroup_id_y 0
		.amdhsa_system_sgpr_workgroup_id_z 0
		.amdhsa_system_sgpr_workgroup_info 0
		.amdhsa_system_vgpr_workitem_id 0
		.amdhsa_next_free_vgpr 152
		.amdhsa_next_free_sgpr 48
		.amdhsa_accum_offset 152
		.amdhsa_reserve_vcc 1
		.amdhsa_float_round_mode_32 0
		.amdhsa_float_round_mode_16_64 0
		.amdhsa_float_denorm_mode_32 3
		.amdhsa_float_denorm_mode_16_64 3
		.amdhsa_dx10_clamp 1
		.amdhsa_ieee_mode 1
		.amdhsa_fp16_overflow 0
		.amdhsa_tg_split 0
		.amdhsa_exception_fp_ieee_invalid_op 0
		.amdhsa_exception_fp_denorm_src 0
		.amdhsa_exception_fp_ieee_div_zero 0
		.amdhsa_exception_fp_ieee_overflow 0
		.amdhsa_exception_fp_ieee_underflow 0
		.amdhsa_exception_fp_ieee_inexact 0
		.amdhsa_exception_int_div_zero 0
	.end_amdhsa_kernel
	.text
.Lfunc_end0:
	.size	fft_rtc_fwd_len546_factors_13_3_7_2_wgs_117_tpt_39_halfLds_sp_op_CI_CI_unitstride_sbrr_dirReg, .Lfunc_end0-fft_rtc_fwd_len546_factors_13_3_7_2_wgs_117_tpt_39_halfLds_sp_op_CI_CI_unitstride_sbrr_dirReg
                                        ; -- End function
	.section	.AMDGPU.csdata,"",@progbits
; Kernel info:
; codeLenInByte = 11972
; NumSgprs: 54
; NumVgprs: 152
; NumAgprs: 0
; TotalNumVgprs: 152
; ScratchSize: 0
; MemoryBound: 0
; FloatMode: 240
; IeeeMode: 1
; LDSByteSize: 0 bytes/workgroup (compile time only)
; SGPRBlocks: 6
; VGPRBlocks: 18
; NumSGPRsForWavesPerEU: 54
; NumVGPRsForWavesPerEU: 152
; AccumOffset: 152
; Occupancy: 3
; WaveLimiterHint : 1
; COMPUTE_PGM_RSRC2:SCRATCH_EN: 0
; COMPUTE_PGM_RSRC2:USER_SGPR: 2
; COMPUTE_PGM_RSRC2:TRAP_HANDLER: 0
; COMPUTE_PGM_RSRC2:TGID_X_EN: 1
; COMPUTE_PGM_RSRC2:TGID_Y_EN: 0
; COMPUTE_PGM_RSRC2:TGID_Z_EN: 0
; COMPUTE_PGM_RSRC2:TIDIG_COMP_CNT: 0
; COMPUTE_PGM_RSRC3_GFX90A:ACCUM_OFFSET: 37
; COMPUTE_PGM_RSRC3_GFX90A:TG_SPLIT: 0
	.text
	.p2alignl 6, 3212836864
	.fill 256, 4, 3212836864
	.type	__hip_cuid_4901e4a8d687a103,@object ; @__hip_cuid_4901e4a8d687a103
	.section	.bss,"aw",@nobits
	.globl	__hip_cuid_4901e4a8d687a103
__hip_cuid_4901e4a8d687a103:
	.byte	0                               ; 0x0
	.size	__hip_cuid_4901e4a8d687a103, 1

	.ident	"AMD clang version 19.0.0git (https://github.com/RadeonOpenCompute/llvm-project roc-6.4.0 25133 c7fe45cf4b819c5991fe208aaa96edf142730f1d)"
	.section	".note.GNU-stack","",@progbits
	.addrsig
	.addrsig_sym __hip_cuid_4901e4a8d687a103
	.amdgpu_metadata
---
amdhsa.kernels:
  - .agpr_count:     0
    .args:
      - .actual_access:  read_only
        .address_space:  global
        .offset:         0
        .size:           8
        .value_kind:     global_buffer
      - .offset:         8
        .size:           8
        .value_kind:     by_value
      - .actual_access:  read_only
        .address_space:  global
        .offset:         16
        .size:           8
        .value_kind:     global_buffer
      - .actual_access:  read_only
        .address_space:  global
        .offset:         24
        .size:           8
        .value_kind:     global_buffer
      - .actual_access:  read_only
        .address_space:  global
        .offset:         32
        .size:           8
        .value_kind:     global_buffer
      - .offset:         40
        .size:           8
        .value_kind:     by_value
      - .actual_access:  read_only
        .address_space:  global
        .offset:         48
        .size:           8
        .value_kind:     global_buffer
      - .actual_access:  read_only
        .address_space:  global
        .offset:         56
        .size:           8
        .value_kind:     global_buffer
      - .offset:         64
        .size:           4
        .value_kind:     by_value
      - .actual_access:  read_only
        .address_space:  global
        .offset:         72
        .size:           8
        .value_kind:     global_buffer
      - .actual_access:  read_only
        .address_space:  global
        .offset:         80
        .size:           8
        .value_kind:     global_buffer
      - .actual_access:  read_only
        .address_space:  global
        .offset:         88
        .size:           8
        .value_kind:     global_buffer
      - .actual_access:  write_only
        .address_space:  global
        .offset:         96
        .size:           8
        .value_kind:     global_buffer
    .group_segment_fixed_size: 0
    .kernarg_segment_align: 8
    .kernarg_segment_size: 104
    .language:       OpenCL C
    .language_version:
      - 2
      - 0
    .max_flat_workgroup_size: 117
    .name:           fft_rtc_fwd_len546_factors_13_3_7_2_wgs_117_tpt_39_halfLds_sp_op_CI_CI_unitstride_sbrr_dirReg
    .private_segment_fixed_size: 0
    .sgpr_count:     54
    .sgpr_spill_count: 0
    .symbol:         fft_rtc_fwd_len546_factors_13_3_7_2_wgs_117_tpt_39_halfLds_sp_op_CI_CI_unitstride_sbrr_dirReg.kd
    .uniform_work_group_size: 1
    .uses_dynamic_stack: false
    .vgpr_count:     152
    .vgpr_spill_count: 0
    .wavefront_size: 64
amdhsa.target:   amdgcn-amd-amdhsa--gfx950
amdhsa.version:
  - 1
  - 2
...

	.end_amdgpu_metadata
